;; amdgpu-corpus repo=ROCm/Tensile kind=harvested arch=n/a opt=n/a

/******************************************/
/* Function Prefix                        */
/******************************************/



/******************************************/
/* Begin Kernel                           */
/******************************************/

// Component.Signature.SignatureDefault
.amdgcn_target "amdgcn-amd-amdhsa--gfx942"
.text
.protected Cijk_Ailk_Bjlk_BBS_BH_MT256x256x32_MI16x16x16x1_SN_1LDSB1_APM1_AF0EM8_AF1EM8_AMAS3_ASE_ASGT3256_ASLT_ASM0256_ASAE01_ASCE01_ASEM64_BL1_BS1_CLR1_DTVA0_DTVB0_ETSP_EPS1_ELFLR0_EMLL0_FSSC10_FL0_GLVWA8_GLVWB8_GRCGA1_GRPM1_GRVW8_GSU1_GSUASB_GLS0_IU1_K1_LBSPPA0_LBSPPB2048_LPA0_LPB32_LRVW4_LWPMn1_MIAV0_MKFGSU256_NTA0_NTB0_NTC3_NTD3_NEPBS0_NLCA2_NLCB2_ONLL1_PGR2_PLR3_PKA0_SIA3_SLW1_SS1_SU0_SUM0_SUS0_SPO1_SRVW0_SSO0_SVW2_TSGRA0_TSGRB0_TT8_128_TLDS0_UMLDSA0_UMLDSB0_USFGROn1_VAW1_VSn1_VW2_VWB1_VFLRP1_WSGRA1_WSGRB1_WG32_8_1_WGM16
.globl Cijk_Ailk_Bjlk_BBS_BH_MT256x256x32_MI16x16x16x1_SN_1LDSB1_APM1_AF0EM8_AF1EM8_AMAS3_ASE_ASGT3256_ASLT_ASM0256_ASAE01_ASCE01_ASEM64_BL1_BS1_CLR1_DTVA0_DTVB0_ETSP_EPS1_ELFLR0_EMLL0_FSSC10_FL0_GLVWA8_GLVWB8_GRCGA1_GRPM1_GRVW8_GSU1_GSUASB_GLS0_IU1_K1_LBSPPA0_LBSPPB2048_LPA0_LPB32_LRVW4_LWPMn1_MIAV0_MKFGSU256_NTA0_NTB0_NTC3_NTD3_NEPBS0_NLCA2_NLCB2_ONLL1_PGR2_PLR3_PKA0_SIA3_SLW1_SS1_SU0_SUM0_SUS0_SPO1_SRVW0_SSO0_SVW2_TSGRA0_TSGRB0_TT8_128_TLDS0_UMLDSA0_UMLDSB0_USFGROn1_VAW1_VSn1_VW2_VWB1_VFLRP1_WSGRA1_WSGRB1_WG32_8_1_WGM16
.p2align 8
.type Cijk_Ailk_Bjlk_BBS_BH_MT256x256x32_MI16x16x16x1_SN_1LDSB1_APM1_AF0EM8_AF1EM8_AMAS3_ASE_ASGT3256_ASLT_ASM0256_ASAE01_ASCE01_ASEM64_BL1_BS1_CLR1_DTVA0_DTVB0_ETSP_EPS1_ELFLR0_EMLL0_FSSC10_FL0_GLVWA8_GLVWB8_GRCGA1_GRPM1_GRVW8_GSU1_GSUASB_GLS0_IU1_K1_LBSPPA0_LBSPPB2048_LPA0_LPB32_LRVW4_LWPMn1_MIAV0_MKFGSU256_NTA0_NTB0_NTC3_NTD3_NEPBS0_NLCA2_NLCB2_ONLL1_PGR2_PLR3_PKA0_SIA3_SLW1_SS1_SU0_SUM0_SUS0_SPO1_SRVW0_SSO0_SVW2_TSGRA0_TSGRB0_TT8_128_TLDS0_UMLDSA0_UMLDSB0_USFGROn1_VAW1_VSn1_VW2_VWB1_VFLRP1_WSGRA1_WSGRB1_WG32_8_1_WGM16,@function
.section .rodata,#alloc
.p2align 6
.amdhsa_kernel Cijk_Ailk_Bjlk_BBS_BH_MT256x256x32_MI16x16x16x1_SN_1LDSB1_APM1_AF0EM8_AF1EM8_AMAS3_ASE_ASGT3256_ASLT_ASM0256_ASAE01_ASCE01_ASEM64_BL1_BS1_CLR1_DTVA0_DTVB0_ETSP_EPS1_ELFLR0_EMLL0_FSSC10_FL0_GLVWA8_GLVWB8_GRCGA1_GRPM1_GRVW8_GSU1_GSUASB_GLS0_IU1_K1_LBSPPA0_LBSPPB2048_LPA0_LPB32_LRVW4_LWPMn1_MIAV0_MKFGSU256_NTA0_NTB0_NTC3_NTD3_NEPBS0_NLCA2_NLCB2_ONLL1_PGR2_PLR3_PKA0_SIA3_SLW1_SS1_SU0_SUM0_SUS0_SPO1_SRVW0_SSO0_SVW2_TSGRA0_TSGRB0_TT8_128_TLDS0_UMLDSA0_UMLDSB0_USFGROn1_VAW1_VSn1_VW2_VWB1_VFLRP1_WSGRA1_WSGRB1_WG32_8_1_WGM16
  .amdhsa_user_sgpr_kernarg_segment_ptr 1
  .amdhsa_user_sgpr_kernarg_preload_offset 0
  .amdhsa_user_sgpr_kernarg_preload_length 0
  .amdhsa_user_sgpr_count 2
  .amdhsa_accum_offset 256 // accvgpr offset
  .amdhsa_next_free_vgpr 512 // vgprs
  .amdhsa_next_free_sgpr 66 // sgprs
  .amdhsa_group_segment_fixed_size 33280 // lds bytes
  .amdhsa_private_segment_fixed_size 0
  .amdhsa_system_sgpr_workgroup_id_x 1
  .amdhsa_system_sgpr_workgroup_id_y 1
  .amdhsa_system_sgpr_workgroup_id_z 1
  .amdhsa_system_vgpr_workitem_id 0
  .amdhsa_float_denorm_mode_32 3
  .amdhsa_float_denorm_mode_16_64 3
.end_amdhsa_kernel
.text

/******************************************/
/* Optimizations and Config:              */
/******************************************/
/* ThreadTile= 32 x 8 */
/* SubGroup= 8 x 32 */
/* VectorWidthA=2 */
/* VectorWidthB=1 */
/* GlobalLoadVectorWidthA=8, GlobalLoadVectorWidthB=8 */
/* DirectToLdsA=False */
/* DirectToLdsB=False */
/* UseSgprForGRO=1 */
.amdgpu_metadata
---
amdhsa.version:
  - 1
  - 1
amdhsa.target: amdgcn-amd-amdhsa--gfx942
amdhsa.kernels:
  - .name: Cijk_Ailk_Bjlk_BBS_BH_MT256x256x32_MI16x16x16x1_SN_1LDSB1_APM1_AF0EM8_AF1EM8_AMAS3_ASE_ASGT3256_ASLT_ASM0256_ASAE01_ASCE01_ASEM64_BL1_BS1_CLR1_DTVA0_DTVB0_ETSP_EPS1_ELFLR0_EMLL0_FSSC10_FL0_GLVWA8_GLVWB8_GRCGA1_GRPM1_GRVW8_GSU1_GSUASB_GLS0_IU1_K1_LBSPPA0_LBSPPB2048_LPA0_LPB32_LRVW4_LWPMn1_MIAV0_MKFGSU256_NTA0_NTB0_NTC3_NTD3_NEPBS0_NLCA2_NLCB2_ONLL1_PGR2_PLR3_PKA0_SIA3_SLW1_SS1_SU0_SUM0_SUS0_SPO1_SRVW0_SSO0_SVW2_TSGRA0_TSGRB0_TT8_128_TLDS0_UMLDSA0_UMLDSB0_USFGROn1_VAW1_VSn1_VW2_VWB1_VFLRP1_WSGRA1_WSGRB1_WG32_8_1_WGM16
    .symbol: 'Cijk_Ailk_Bjlk_BBS_BH_MT256x256x32_MI16x16x16x1_SN_1LDSB1_APM1_AF0EM8_AF1EM8_AMAS3_ASE_ASGT3256_ASLT_ASM0256_ASAE01_ASCE01_ASEM64_BL1_BS1_CLR1_DTVA0_DTVB0_ETSP_EPS1_ELFLR0_EMLL0_FSSC10_FL0_GLVWA8_GLVWB8_GRCGA1_GRPM1_GRVW8_GSU1_GSUASB_GLS0_IU1_K1_LBSPPA0_LBSPPB2048_LPA0_LPB32_LRVW4_LWPMn1_MIAV0_MKFGSU256_NTA0_NTB0_NTC3_NTD3_NEPBS0_NLCA2_NLCB2_ONLL1_PGR2_PLR3_PKA0_SIA3_SLW1_SS1_SU0_SUM0_SUS0_SPO1_SRVW0_SSO0_SVW2_TSGRA0_TSGRB0_TT8_128_TLDS0_UMLDSA0_UMLDSB0_USFGROn1_VAW1_VSn1_VW2_VWB1_VFLRP1_WSGRA1_WSGRB1_WG32_8_1_WGM16.kd'
    .language:                   OpenCL C
    .language_version:
      - 2
      - 0
    .args:
      - .name:            Tensor2dSizeA
        .size:            8
        .offset:          0
        .value_kind:      by_value
        .value_type:      u64
      - .name:            Tensor2dSizeB
        .size:            8
        .offset:          8
        .value_kind:      by_value
        .value_type:      u64
      - .name:            AddressD
        .size:            8
        .offset:          16
        .value_kind:      by_value
        .value_type:      u64
      - .name:            AddressC
        .size:            8
        .offset:          24
        .value_kind:      by_value
        .value_type:      u64
      - .name:            AddressA
        .size:            8
        .offset:          32
        .value_kind:      by_value
        .value_type:      u64
      - .name:            AddressB
        .size:            8
        .offset:          40
        .value_kind:      by_value
        .value_type:      u64
      - .name:            Alpha
        .size:            4
        .offset:          48
        .value_kind:      by_value
        .value_type:      u32
      - .name:            Beta
        .size:            4
        .offset:          52
        .value_kind:      by_value
        .value_type:      u32
      - .name:            StridesD
        .size:            8
        .offset:          56
        .value_kind:      by_value
        .value_type:      u64
      - .name:            StridesC
        .size:            8
        .offset:          64
        .value_kind:      by_value
        .value_type:      u64
      - .name:            StridesA
        .size:            8
        .offset:          72
        .value_kind:      by_value
        .value_type:      u64
      - .name:            StridesB
        .size:            8
        .offset:          80
        .value_kind:      by_value
        .value_type:      u64
      - .name:            SizesFree
        .size:            12
        .offset:          88
        .value_kind:      by_value
        .value_type:      u96
      - .name:            SizesSum
        .size:            4
        .offset:          100
        .value_kind:      by_value
        .value_type:      u32
      - .name:            NumWorkGroups0
        .size:            4
        .offset:          104
        .value_kind:      by_value
        .value_type:      u32
      - .name:            NumWorkGroups1
        .size:            4
        .offset:          108
        .value_kind:      by_value
        .value_type:      u32
      - .name:            NumFullBlocks
        .size:            4
        .offset:          112
        .value_kind:      by_value
        .value_type:      u32
      - .name:            WgmRemainder1
        .size:            4
        .offset:          116
        .value_kind:      by_value
        .value_type:      u32
      - .name:            MagicNumberWgmRemainder1
        .size:            4
        .offset:          120
        .value_kind:      by_value
        .value_type:      u32
    .group_segment_fixed_size:   33280
    .kernarg_segment_align:      8
    .kernarg_segment_size:       128
    .max_flat_workgroup_size:    256
    .private_segment_fixed_size: 0
    .sgpr_count:                 66
    .sgpr_spill_count:           0
    .vgpr_count:                 256
    .vgpr_spill_count:           0
    .wavefront_size:             64
...
.end_amdgpu_metadata
Cijk_Ailk_Bjlk_BBS_BH_MT256x256x32_MI16x16x16x1_SN_1LDSB1_APM1_AF0EM8_AF1EM8_AMAS3_ASE_ASGT3256_ASLT_ASM0256_ASAE01_ASCE01_ASEM64_BL1_BS1_CLR1_DTVA0_DTVB0_ETSP_EPS1_ELFLR0_EMLL0_FSSC10_FL0_GLVWA8_GLVWB8_GRCGA1_GRPM1_GRVW8_GSU1_GSUASB_GLS0_IU1_K1_LBSPPA0_LBSPPB2048_LPA0_LPB32_LRVW4_LWPMn1_MIAV0_MKFGSU256_NTA0_NTB0_NTC3_NTD3_NEPBS0_NLCA2_NLCB2_ONLL1_PGR2_PLR3_PKA0_SIA3_SLW1_SS1_SU0_SUM0_SUS0_SPO1_SRVW0_SSO0_SVW2_TSGRA0_TSGRB0_TT8_128_TLDS0_UMLDSA0_UMLDSB0_USFGROn1_VAW1_VSn1_VW2_VWB1_VFLRP1_WSGRA1_WSGRB1_WG32_8_1_WGM16:

/******************************************/
/* Asm syntax workarounds                 */
/******************************************/
.macro _v_add_co_u32 dst:req, cc:req, src0:req, src1:req, dpp=
   v_add_co_u32 \dst, \cc, \src0, \src1 \dpp
.endm

.macro _v_add_u32 dst:req, src0:req, src1:req, dpp=
   v_add_u32 \dst, \src0, \src1 \dpp
.endm

.macro _v_add_i32 dst:req, src0:req, src1:req, dpp=
   v_add_i32 \dst, \src0, \src1 \dpp
.endm

.macro _v_addc_co_u32 dst:req, ccOut:req, src0:req, ccIn:req, src1:req, dpp=
   v_addc_co_u32 \dst, \ccOut, \src0, \ccIn, \src1 \dpp
.endm

.macro _v_sub_co_u32 dst:req, cc:req, src0:req, src1:req, dpp=
   v_sub_co_u32 \dst, \cc, \src0, \src1 \dpp
.endm

.macro _v_sub_u32 dst:req, src0:req, src1:req, dpp=
   v_sub_u32 \dst, \src0, \src1 \dpp
.endm

.macro _v_sub_i32 dst:req, src0:req, src1:req, dpp=
   v_sub_i32 \dst, \src0, \src1 \dpp
.endm

.macro _v_add_lshl_u32 dst:req, src0:req, src1:req, shiftCnt:req
    v_add_lshl_u32 \dst, \src0, \src1, \shiftCnt
.endm

.macro _v_lshl_add_u32 dst:req, src0:req, src1:req, shiftCnt:req
    v_lshl_add_u32 \dst, \src0, \src1, \shiftCnt
.endm

.macro _v_lshl_or_b32 dst:req, src0:req, shiftCnt:req, src1:req
    v_lshl_or_b32 \dst, \src0, \shiftCnt, \src1
.endm

.macro _v_dot2acc_f32_f16 dst, src0, src1
v_dot2c_f32_f16 \dst, \src0, \src1
.endm

.macro _v_cmpx_lt_i16 dst, src0, src1=
   v_cmpx_lt_i16 \dst, \src0, \src1 
.endm

.macro _v_cmpx_lt_i32 dst, src0, src1=
   v_cmpx_lt_i32 \dst, \src0, \src1 
.endm

.macro _v_cmpx_lt_i64 dst, src0, src1=
   v_cmpx_lt_i64 \dst, \src0, \src1 
.endm

.macro _v_cmpx_lt_u16 dst, src0, src1=
   v_cmpx_lt_u16 \dst, \src0, \src1 
.endm

.macro _v_cmpx_lt_u32 dst, src0, src1=
   v_cmpx_lt_u32 \dst, \src0, \src1 
.endm

.macro _v_cmpx_lt_u64 dst, src0, src1=
   v_cmpx_lt_u64 \dst, \src0, \src1 
.endm

.macro _v_cmpx_eq_i16 dst, src0, src1=
   v_cmpx_eq_i16 \dst, \src0, \src1 
.endm

.macro _v_cmpx_eq_i32 dst, src0, src1=
   v_cmpx_eq_i32 \dst, \src0, \src1 
.endm

.macro _v_cmpx_eq_i64 dst, src0, src1=
   v_cmpx_eq_i64 \dst, \src0, \src1 
.endm

.macro _v_cmpx_eq_u16 dst, src0, src1=
   v_cmpx_eq_u16 \dst, \src0, \src1 
.endm

.macro _v_cmpx_eq_u32 dst, src0, src1=
   v_cmpx_eq_u32 \dst, \src0, \src1 
.endm

.macro _v_cmpx_eq_u64 dst, src0, src1=
   v_cmpx_eq_u64 \dst, \src0, \src1 
.endm

.macro _v_cmpx_le_i16 dst, src0, src1=
   v_cmpx_le_i16 \dst, \src0, \src1 
.endm

.macro _v_cmpx_le_i32 dst, src0, src1=
   v_cmpx_le_i32 \dst, \src0, \src1 
.endm

.macro _v_cmpx_le_i64 dst, src0, src1=
   v_cmpx_le_i64 \dst, \src0, \src1 
.endm

.macro _v_cmpx_le_u16 dst, src0, src1=
   v_cmpx_le_u16 \dst, \src0, \src1 
.endm

.macro _v_cmpx_le_u32 dst, src0, src1=
   v_cmpx_le_u32 \dst, \src0, \src1 
.endm

.macro _v_cmpx_le_u64 dst, src0, src1=
   v_cmpx_le_u64 \dst, \src0, \src1 
.endm

.macro _v_cmpx_gt_i16 dst, src0, src1=
   v_cmpx_gt_i16 \dst, \src0, \src1 
.endm

.macro _v_cmpx_gt_i32 dst, src0, src1=
   v_cmpx_gt_i32 \dst, \src0, \src1 
.endm

.macro _v_cmpx_gt_i64 dst, src0, src1=
   v_cmpx_gt_i64 \dst, \src0, \src1 
.endm

.macro _v_cmpx_gt_u16 dst, src0, src1=
   v_cmpx_gt_u16 \dst, \src0, \src1 
.endm

.macro _v_cmpx_gt_u32 dst, src0, src1=
   v_cmpx_gt_u32 \dst, \src0, \src1 
.endm

.macro _v_cmpx_gt_u64 dst, src0, src1=
   v_cmpx_gt_u64 \dst, \src0, \src1 
.endm

.macro _v_cmpx_ne_i16 dst, src0, src1=
   v_cmpx_ne_i16 \dst, \src0, \src1 
.endm

.macro _v_cmpx_ne_i32 dst, src0, src1=
   v_cmpx_ne_i32 \dst, \src0, \src1 
.endm

.macro _v_cmpx_ne_i64 dst, src0, src1=
   v_cmpx_ne_i64 \dst, \src0, \src1 
.endm

.macro _v_cmpx_ne_u16 dst, src0, src1=
   v_cmpx_ne_u16 \dst, \src0, \src1 
.endm

.macro _v_cmpx_ne_u32 dst, src0, src1=
   v_cmpx_ne_u32 \dst, \src0, \src1 
.endm

.macro _v_cmpx_ne_u64 dst, src0, src1=
   v_cmpx_ne_u64 \dst, \src0, \src1 
.endm

.macro _v_cmpx_lg_i16 dst, src0, src1=
   v_cmpx_lg_i16 \dst, \src0, \src1 
.endm

.macro _v_cmpx_lg_i32 dst, src0, src1=
   v_cmpx_lg_i32 \dst, \src0, \src1 
.endm

.macro _v_cmpx_lg_i64 dst, src0, src1=
   v_cmpx_lg_i64 \dst, \src0, \src1 
.endm

.macro _v_cmpx_lg_u16 dst, src0, src1=
   v_cmpx_lg_u16 \dst, \src0, \src1 
.endm

.macro _v_cmpx_lg_u32 dst, src0, src1=
   v_cmpx_lg_u32 \dst, \src0, \src1 
.endm

.macro _v_cmpx_lg_u64 dst, src0, src1=
   v_cmpx_lg_u64 \dst, \src0, \src1 
.endm

.macro _v_cmpx_ge_i16 dst, src0, src1=
   v_cmpx_ge_i16 \dst, \src0, \src1 
.endm

.macro _v_cmpx_ge_i32 dst, src0, src1=
   v_cmpx_ge_i32 \dst, \src0, \src1 
.endm

.macro _v_cmpx_ge_i64 dst, src0, src1=
   v_cmpx_ge_i64 \dst, \src0, \src1 
.endm

.macro _v_cmpx_ge_u16 dst, src0, src1=
   v_cmpx_ge_u16 \dst, \src0, \src1 
.endm

.macro _v_cmpx_ge_u32 dst, src0, src1=
   v_cmpx_ge_u32 \dst, \src0, \src1 
.endm

.macro _v_cmpx_ge_u64 dst, src0, src1=
   v_cmpx_ge_u64 \dst, \src0, \src1 
.endm

.macro _v_cmpx_o_i16 dst, src0, src1=
   v_cmpx_o_i16 \dst, \src0, \src1 
.endm

.macro _v_cmpx_o_i32 dst, src0, src1=
   v_cmpx_o_i32 \dst, \src0, \src1 
.endm

.macro _v_cmpx_o_i64 dst, src0, src1=
   v_cmpx_o_i64 \dst, \src0, \src1 
.endm

.macro _v_cmpx_o_u16 dst, src0, src1=
   v_cmpx_o_u16 \dst, \src0, \src1 
.endm

.macro _v_cmpx_o_u32 dst, src0, src1=
   v_cmpx_o_u32 \dst, \src0, \src1 
.endm

.macro _v_cmpx_o_u64 dst, src0, src1=
   v_cmpx_o_u64 \dst, \src0, \src1 
.endm

.macro _v_cmpx_u_i16 dst, src0, src1=
   v_cmpx_u_i16 \dst, \src0, \src1 
.endm

.macro _v_cmpx_u_i32 dst, src0, src1=
   v_cmpx_u_i32 \dst, \src0, \src1 
.endm

.macro _v_cmpx_u_i64 dst, src0, src1=
   v_cmpx_u_i64 \dst, \src0, \src1 
.endm

.macro _v_cmpx_u_u16 dst, src0, src1=
   v_cmpx_u_u16 \dst, \src0, \src1 
.endm

.macro _v_cmpx_u_u32 dst, src0, src1=
   v_cmpx_u_u32 \dst, \src0, \src1 
.endm

.macro _v_cmpx_u_u64 dst, src0, src1=
   v_cmpx_u_u64 \dst, \src0, \src1 
.endm
.macro _v_mac_f32 c:req, a:req, b:req
    v_fmac_f32 \c, \a, \b
.endmacro

/* scale global load macros */
.macro _s_load_b32 dst base offset
    s_load_dword \dst \base \offset
.endm

.macro _s_load_b64 dst base offset
    s_load_dwordx2 \dst \base \offset
.endm

.macro _s_load_b128 dst base offset
    s_load_dwordx4 \dst \base \offset
.endm

.macro _s_load_b256 dst base offset
    s_load_dwordx8 \dst \base \offset
.endm

.macro _s_load_b512 dst base offset
    s_load_dwordx16 \dst \base \offset
.endm


/* ds operation macros */
.macro _ds_load_u8 dst src offset
    ds_read_u8 \dst \src \offset
.endm

.macro _ds_load_u8_d16_hi dst src offset
    ds_read_u8_d16_hi \dst \src \offset
.endm

.macro _ds_load_u16 dst src offset
    ds_read_u16 \dst \src \offset
.endm

.macro _ds_load_u16_d16_hi dst src offset
    ds_read_u16_d16_hi \dst \src \offset
.endm

.macro _ds_load_b32 dst src offset
    ds_read_b32 \dst \src \offset
.endm

.macro _ds_load_b64 dst src offset
    ds_read_b64 \dst \src \offset
.endm

.macro _ds_load_b128 dst src offset
    ds_read_b128 \dst \src \offset
.endm

.macro _ds_store_b8 dst src offset
    ds_write_b8 \dst \src \offset
.endm

.macro _ds_store_b8_d16_hi dst src offset
    ds_write_b8_d16_hi \dst \src \offset
.endm

.macro _ds_store_b16 dst src offset
    ds_write_b16 \dst \src \offset
.endm

.macro _ds_store_b16_d16_hi dst src offset
    ds_write_b16_d16_hi \dst \src \offset
.endm

.macro _ds_store_b32 dst src offset
    ds_write_b32 \dst \src \offset
.endm

.macro _ds_store_b64 dst src offset
    ds_write_b64 \dst \src \offset
.endm

.macro _ds_store_b128 dst src offset
    ds_write_b128 \dst \src \offset
.endm

.macro _ds_load2_b32 dst src offset1 offset2
    ds_read2_b32 \dst \src \offset1 \offset2
.endm

.macro _ds_load2_b64 dst src offset1 offset2
    ds_read2_b64 \dst \src \offset1 \offset2
.endm

.macro _ds_store2_b32 dst src offset1 offset2
    ds_write2_b32 \dst \src \offset1 \offset2
.endm

.macro _ds_store2_b64 dst src offset1 offset2
    ds_write2_b64 \dst \src \offset1 \offset2
.endm


/* buffer memory operation macros */
.macro _buffer_load_b32 dst voffset base soffset offen ioffset md0 md1 md2
    buffer_load_dword \dst \voffset \base \soffset \offen \ioffset \md0 \md1 \md2
.endm

.macro _buffer_load_b64 dst voffset base soffset offen ioffset md0 md1 md2
    buffer_load_dwordx2 \dst \voffset \base \soffset \offen \ioffset \md0 \md1 \md2
.endm

.macro _buffer_load_b96 dst voffset base soffset offen ioffset md0 md1 md2
    buffer_load_dwordx3 \dst \voffset \base \soffset \offen \ioffset \md0 \md1 \md2
.endm

.macro _buffer_load_b128 dst voffset base soffset offen ioffset md0 md1 md2
    buffer_load_dwordx4 \dst \voffset \base \soffset \offen \ioffset \md0 \md1 \md2
.endm

.macro _buffer_load_d16_b16 dst voffset base soffset offen ioffset md0 md1 md2
    buffer_load_short_d16 \dst \voffset \base \soffset \offen \ioffset \md0 \md1 \md2
.endm

.macro _buffer_load_d16_hi_b16 dst voffset base soffset offen ioffset md0 md1 md2
    buffer_load_short_d16_hi \dst \voffset \base \soffset \offen \ioffset \md0 \md1 \md2
.endm

.macro _buffer_load_d16_u8 dst voffset base soffset offen ioffset md0 md1 md2
    buffer_load_ubyte_d16 \dst \voffset \base \soffset \offen \ioffset \md0 \md1 \md2
.endm

.macro _buffer_load_d16_hi_u8 dst voffset base soffset offen ioffset md0 md1 md2
    buffer_load_ubyte_d16_hi \dst \voffset \base \soffset \offen \ioffset \md0 \md1 \md2
.endm

.macro _buffer_load_u16 dst voffset base soffset offen ioffset md0 md1 md2
    buffer_load_ushort \dst \voffset \base \soffset \offen \ioffset \md0 \md1 \md2
.endm

.macro _buffer_load_b32_dtl voffset base soffset offen ioffset md0 md1 md2
    buffer_load_dword \voffset \base \soffset \offen \ioffset \md0 \md1 \md2
.endm

.macro _buffer_load_b64_dtl voffset base soffset offen ioffset md0 md1 md2
    buffer_load_dwordx2 \voffset \base \soffset \offen \ioffset \md0 \md1 \md2
.endm

.macro _buffer_load_b128_dtl voffset base soffset offen ioffset md0 md1 md2
    buffer_load_dwordx4 \voffset \base \soffset \offen \ioffset \md0 \md1 \md2
.endm

.macro _buffer_load_u16_dtl voffset base soffset offen ioffset md0 md1 md2
    buffer_load_ushort \voffset \base \soffset \offen \ioffset \md0 \md1 \md2
.endm

.macro _buffer_store_b32 src voffset base soffset offen ioffset md0 md1 md2
    buffer_store_dword \src \voffset \base \soffset \offen \ioffset \md0 \md1 \md2
.endm

.macro _buffer_store_b64 src voffset base soffset offen ioffset md0 md1 md2
    buffer_store_dwordx2 \src \voffset \base \soffset \offen \ioffset \md0 \md1 \md2
.endm

.macro _buffer_store_b96 src voffset base soffset offen ioffset md0 md1 md2
    buffer_store_dwordx3 \src \voffset \base \soffset \offen \ioffset \md0 \md1 \md2
.endm

.macro _buffer_store_b128 src voffset base soffset offen ioffset md0 md1 md2
    buffer_store_dwordx4 \src \voffset \base \soffset \offen \ioffset \md0 \md1 \md2
.endm

.macro _buffer_store_b16 src voffset base soffset offen ioffset md0 md1 md2
    buffer_store_short \src \voffset \base \soffset \offen \ioffset \md0 \md1 \md2
.endm

.macro _buffer_store_d16_hi_b16 src voffset base soffset offen ioffset md0 md1 md2
    buffer_store_short_d16_hi \src \voffset \base \soffset \offen \ioffset \md0 \md1 \md2
.endm

.macro _buffer_store_b8 src voffset base soffset offen ioffset md0 md1 md2
    buffer_store_byte \src \voffset \base \soffset \offen \ioffset \md0 \md1 \md2
.endm

.macro _buffer_store_d16_hi_b8 src voffset base soffset offen ioffset md0 md1 md2
    buffer_store_byte_d16_hi \src \voffset \base \soffset \offen \ioffset \md0 \md1 \md2
.endm

.macro _buffer_atomic_cmpswap_b32 dst voffset base soffset offen ioffset md0 md1 md2
    buffer_atomic_cmpswap \dst \voffset \base \soffset \offen \ioffset \md0 \md1 \md2
.endm

.macro _buffer_atomic_cmpswap_b64 dst voffset base soffset offen ioffset md0 md1 md2
    buffer_atomic_cmpswap_x2 \dst \voffset \base \soffset \offen \ioffset \md0 \md1 \md2
.endm


/* buffer memory operation macros */
.macro _global_load_b32 dst base src ioffset md0 md1 md2
    global_load_dword \dst \base \src \ioffset \md0 \md1 \md2
.endm

.macro _global_load_b64 dst base src ioffset md0 md1 md2
    global_load_dwordx2 \dst \base \src \ioffset \md0 \md1 \md2
.endm

.macro _global_load_b96 dst base src ioffset md0 md1 md2
    global_load_dwordx3 \dst \base \src \ioffset \md0 \md1 \md2
.endm

.macro _global_load_b128 dst base src ioffset md0 md1 md2
    global_load_dwordx4 \dst \base \src \ioffset \md0 \md1 \md2
.endm

.macro _global_load_d16_b16 dst base src ioffset md0 md1 md2
    global_load_short_d16 \dst \base \src \ioffset \md0 \md1 \md2
.endm

.macro _global_load_d16_hi_b16 dst base src ioffset md0 md1 md2
    global_load_short_d16_hi \dst \base \src \ioffset \md0 \md1 \md2
.endm

.macro _global_load_d16_u8 dst base src ioffset md0 md1 md2
    global_load_ubyte_d16 \dst \base \src \ioffset \md0 \md1 \md2
.endm

.macro _global_load_d16_hi_u8 dst base src ioffset md0 md1 md2
    global_load_ubyte_d16_hi \dst \base \src \ioffset \md0 \md1 \md2
.endm

.macro _global_load_u16 dst base src ioffset md0 md1 md2
    global_load_ushort \dst \base \src \ioffset \md0 \md1 \md2
.endm

.macro _global_store_b32 base src src2 md0 md1 md2
    global_store_dword \base \src \src2 \md0 \md1 \md2
.endm

.macro _global_store_b64 base src src2 md0 md1 md2
    global_store_dwordx2 \base \src \src2 \md0 \md1 \md2
.endm

.macro _global_store_b96 base src src2 md0 md1 md2
    global_store_dwordx3 \base \src \src2 \md0 \md1 \md2
.endm

.macro _global_store_b128 base src src2 md0 md1 md2
    global_store_dwordx4 \base \src \src2 \md0 \md1 \md2
.endm

.macro _global_store_d16_b16 base src src2 md0 md1 md2
    global_store_short \base \src \src2 \md0 \md1 \md2
.endm

.macro _global_store_d16_hi_b16 base src src2 md0 md1 md2
    global_store_short_d16_hi \base \src \src2 \md0 \md1 \md2
.endm

.macro _global_store_d16_u8 base src src2 md0 md1 md2
    global_store_ubyte_d16 \base \src \src2 \md0 \md1 \md2
.endm

.macro _global_store_d16_hi_u8 base src src2 md0 md1 md2
    global_store_ubyte_d16_hi \base \src \src2 \md0 \md1 \md2
.endm

.macro _global_store_u16 base src src2 md0 md1 md2
    global_store_ushort \base \src \src2 \md0 \md1 \md2
.endm

.macro _global_atomic_cmpswap_b32 tmp base data src ioffset md
    global_atomic_cmpswap \tmp \base \data \src \ioffset \md
.endm

.macro _global_atomic_cmpswap_b64 tmp base data src ioffset md
    global_atomic_cmpswap_x2 \tmp \base \data \src \ioffset \md
.endm


/******************************************/
/* Magic div and mod functions            */
/******************************************/
.macro V_MAGIC_DIV dstIdx:req, dividend:req, magicNumber:req, magicShift:req, magicA:req
    v_mul_hi_u32 v[\dstIdx+1], \dividend, \magicNumber
    v_mul_lo_u32 v[\dstIdx+0], \dividend, \magicA
    _v_add_u32 v[\dstIdx+0], v[\dstIdx+0], v[\dstIdx+1]
    v_lshrrev_b32 v[\dstIdx+0], \magicShift, v[\dstIdx+0]
.endm

/******************************************/
/* VGPR Assignments                       */
/******************************************/
/* ValuC range: [0-0), serializedStore enabled */
.set vgprValuC, 0
/* ValuA/B   Xn=PLR buffer idx,  In=InnerUnroll idx */
.set vgprValuA_X0_I0, 0
.set vgprValuA_X1_I0, 0
.set vgprValuA_X0_I0_D0, 16
.set vgprValuA_X0_I0_D1, 20
.set vgprValuA_X0_I0_D2, 24
.set vgprValuA_X0_I0_D3, 28
.set vgprValuA_X1_I0_D0, 32
.set vgprValuA_X1_I0_D1, 36
.set vgprValuA_X1_I0_D2, 40
.set vgprValuA_X1_I0_D3, 44
.set vgprG2LA, 116
.set vgprValuB_X0_I0, 48
.set vgprValuB_X1_I0, 64
.set vgprValuB_X0_I0_D1, 80
.set vgprValuB_X1_I0_D1, 96
.set vgprG2LB, 132
.set vgprLocalWriteAddrA, 112
.set vgprLocalWriteAddrB, 113
.set vgprGlobalReadOffsetA, 114
.set vgprGlobalReadOffsetB, 115
.set vgprLocalReadAddrA, 148
.set vgprLocalReadAddrB, 149
.set vgprSerial, 150
/* Num VGPR=256 */
/* Num AccVGPR=256 */

/******************************************/
/* SGPR Assignments                       */
/******************************************/
.set sgprKernArgAddress, 0 // (2)
.set sgprWorkGroup0, 2 // (1)
.set sgprWorkGroup1, 3 // (1)
.set sgprWorkGroup2, 4 // (1)
.set sgprLoopCounterL, 5 // (1)
.set sgprOrigLoopCounter, 6 // (1)
.set sgprSrdA, 8 // (4)
.set sgprSrdB, 12 // (4)
.set sgprSrdD, 16 // (4)
.set sgprSrdC, 20 // (4)
.set sgprTensor2dSizeA, 24 // (2)
.set sgprTensor2dSizeB, 26 // (2)
.set sgprAddressD, 28 // (2)
.set sgprAddressC, 30 // (2)
.set sgprAddressA, 32 // (2)
.set sgprAddressB, 34 // (2)
.set sgprAlpha, 36 // (1)
.set sgprBeta, 37 // (1)
.set sgprStridesD, 38 // (2)
.set sgprStridesC, 40 // (2)
.set sgprStridesA, 42 // (2)
.set sgprStridesB, 44 // (2)
.set sgprSizesFree, 46 // (3)
.set sgprSizesSum, 49 // (1)
.set sgprNumWorkGroups0, 50 // (1)
.set sgprNumWorkGroups1, 51 // (1)
.set sgprNumFullBlocks, 52 // (1)
.set sgprWgmRemainder1, 53 // (1)
.set sgprMagicNumberWgmRemainder1, 54 // (1)
.set sgprShadowLimitA, 0 // (2)
.set sgprShadowLimitB, 28 // (2)
.set sgprGlobalReadIncsA, 7 // (1)
.set sgprGlobalReadIncsB, 30 // (1)
.set sgprPackKForV0, 31 // (1)
.set sgprPackKForV1, 32 // (1)
.set sgprScalarGlobalReadOffsetA, 33 // (3)
.set sgprScalarGlobalReadOffsetB, 58 // (3)
/* max SGPR=66 */

/* Size Assignments */
.set sgprSizeI, sgprSizesFree+0
.set sgprSizeJ, sgprSizesFree+1
.set sgprSizeK, sgprSizesFree+2
.set sgprSizeL, sgprSizesSum+0

/* Stride Assignments */
.set constStrideD0I, 1
.set sgprStrideD1J, sgprStridesD+0
.set sgprStrideDK, sgprStridesD+1
.set constStrideC0I, 1
.set sgprStrideC1J, sgprStridesC+0
.set sgprStrideCK, sgprStridesC+1
.set constStrideA0I, 1
.set sgprStrideAL, sgprStridesA+0
.set sgprStrideAK, sgprStridesA+1
.set constStrideB1J, 1
.set sgprStrideBL, sgprStridesB+0
.set sgprStrideBK, sgprStridesB+1

.set MT0, 256
.set MT1, 256
.set DepthU, 32
.set GSU, 1
.set BpeA, 2
.set BpeALog2, 1
.set BpeB, 2
.set BpeBLog2, 1
/* Number of elements to shift-left SRD */
.set SrdShiftLeftA, 8
.set SrdShiftLeftB, 8
/* 2GB limit - set offsets to -1 to exceed this and clamp */
.set BufferLimitA, 0xffffffff
.set BufferLimitB, 0xffffffff
.set BufferOOB, 0xfffff000

/******************************************/
/* Bits 127:96 of SRD.                    */
/* hex: 0x00020000                        */
/* dst_sel_x (3b): 0                      */
/* dst_sel_y (3b): 0                      */
/* dst_sel_z (3b): 0                      */
/* dst_sel_w (3b): 0                      */
/* num_format (3b): 0                     */
/* data_format (4b): 4                    */
/* user_vm_enable (1b): 0                 */
/* user_vm_mode (1b): 0                   */
/* index_stride (2b): 0                   */
/* add_tid_enable (1b): 0                 */
/* _unusedA (3b): 0                       */
/* nv (1b): 0                             */
/* _unusedB (2b): 0                       */
/* type (2b): 0                           */
/******************************************/
.set Srd127_96, 0x00020000

/* Global Offset A */
.macro GLOBAL_OFFSET_A vgprAddr:req vgprOffset0I:req vgprOffsetL:req vgprTmp:req
v_mul_lo_u32 v[\vgprTmp+0], s[sgprStrideAL], v[\vgprOffsetL] // mul d1 lower
_v_add_co_u32 v[\vgprAddr+0], vcc, v[\vgprOffset0I], v[\vgprTmp+0] // accumulate K lower
_v_add_u32 v[\vgprAddr+0], 0x8, v[\vgprAddr+0]     // add prepad for pointer shift
v_lshlrev_b32 v[\vgprAddr+0], 0x1, v[\vgprAddr+0]  // offset *= bytes/element
.endm

/* Global Offset B */
.macro GLOBAL_OFFSET_B vgprAddr:req vgprOffset1J:req vgprOffsetL:req vgprTmp:req
v_mul_lo_u32 v[\vgprTmp+0], s[sgprStrideBL], v[\vgprOffsetL] // mul d1 lower
_v_add_co_u32 v[\vgprAddr+0], vcc, v[\vgprOffset1J], v[\vgprTmp+0] // accumulate K lower
_v_add_u32 v[\vgprAddr+0], 0x8, v[\vgprAddr+0]     // add prepad for pointer shift
v_lshlrev_b32 v[\vgprAddr+0], 0x1, v[\vgprAddr+0]  // offset *= bytes/element
.endm

/******************************************/
/* Dynamic Scalar Divide: vQuotient=vDividend/vDivisor; vRemainder=vDividend%vDivisor; */
/******************************************/
.macro DYNAMIC_VECTOR_DIVIDE vQuotient vRemainder vDividend vDivisor vTmp0 vTmp1 sTmp
v_cvt_f32_u32 v[\vQuotient], v[\vDivisor]          // 
v_rcp_f32 v[\vQuotient], v[\vQuotient]             // 
v_mul_f32 v[\vQuotient], 0x4f800000, v[\vQuotient] // 
v_cvt_u32_f32 v[\vQuotient], v[\vQuotient]         // 
v_mul_lo_u32 v[\vRemainder], v[\vDivisor], v[\vQuotient] // 
v_mul_hi_u32 v[\vTmp0], v[\vDivisor], v[\vQuotient] // 
_v_sub_co_u32 v[\vTmp1], vcc, 0x0, v[\vRemainder]  // 
v_cmp_ne_i32 s[\sTmp:\sTmp+1], 0x0, v[\vTmp0]      // 
v_cndmask_b32 v[\vRemainder], v[\vTmp1], v[\vRemainder], s[\sTmp:\sTmp+1] // 
v_mul_hi_u32 v[\vRemainder], v[\vRemainder], v[\vQuotient] // 
_v_sub_co_u32 v[\vTmp0], vcc, v[\vQuotient], v[\vRemainder] // 
_v_add_co_u32 v[\vQuotient], vcc, v[\vQuotient], v[\vRemainder] // 
v_cndmask_b32 v[\vQuotient], v[\vQuotient], v[\vTmp0], s[\sTmp:\sTmp+1] // 
v_mul_hi_u32 v[\vQuotient], v[\vQuotient], v[\vDividend] // 
v_mul_lo_u32 v[\vRemainder], v[\vQuotient], v[\vDivisor] // 
_v_sub_co_u32 v[\vTmp0], vcc, v[\vDividend], v[\vRemainder] // 
v_cmp_ge_u32 s[\sTmp:\sTmp+1], v[\vDividend], v[\vRemainder] // 
_v_add_co_u32 v[\vRemainder], vcc, 0x1, v[\vQuotient] // 
_v_add_co_u32 v[\vTmp1], vcc, -1, v[\vQuotient]    // 
v_cmp_le_u32 vcc, v[\vDivisor], v[\vTmp0]          // 
s_and_b64 vcc, s[\sTmp:\sTmp+1], vcc               // 
v_cndmask_b32 v[\vQuotient], v[\vQuotient], v[\vRemainder], vcc // 
v_cndmask_b32 v[\vQuotient], v[\vTmp1], v[\vQuotient], s[\sTmp:\sTmp+1] // 
v_cmp_ne_i32 vcc, 0x0, v[\vDivisor]                // 
v_cndmask_b32 v[\vQuotient], -1, v[\vQuotient], vcc // final result
v_mul_lo_u32 v[\vRemainder], v[\vQuotient], v[\vDivisor] // 
_v_sub_co_u32 v[\vRemainder], vcc, v[\vDividend], v[\vRemainder] // final result
.endm


	;; [unrolled: 1-line block ×3, first 2 shown]
/******************************************/
/* Allocate Resources                     */
/******************************************/

Cijk_Ailk_Bjlk_BBS_BH_MT256x256x32_MI16x16x16x1_SN_1LDSB1_APM1_AF0EM8_AF1EM8_AMAS3_ASE_ASGT3256_ASLT_ASM0256_ASAE01_ASCE01_ASEM64_BL1_BS1_CLR1_DTVA0_DTVB0_ETSP_EPS1_ELFLR0_EMLL0_FSSC10_FL0_GLVWA8_GLVWB8_GRCGA1_GRPM1_GRVW8_GSU1_GSUASB_GLS0_IU1_K1_LBSPPA0_LBSPPB2048_LPA0_LPB32_LRVW4_LWPMn1_MIAV0_MKFGSU256_NTA0_NTB0_NTC3_NTD3_NEPBS0_NLCA2_NLCB2_ONLL1_PGR2_PLR3_PKA0_SIA3_SLW1_SS1_SU0_SUM0_SUS0_SPO1_SRVW0_SSO0_SVW2_TSGRA0_TSGRB0_TT8_128_TLDS0_UMLDSA0_UMLDSB0_USFGROn1_VAW1_VSn1_VW2_VWB1_VFLRP1_WSGRA1_WSGRB1_WG32_8_1_WGM16_preloaded: // Kernel start when preloading
s_setprio 3                                        // optimization store

/* Load Kernel Args */
_s_load_b512 s[24:39], s[sgprKernArgAddress:sgprKernArgAddress+1], 0x0 // 
_s_load_b256 s[40:47], s[sgprKernArgAddress:sgprKernArgAddress+1], 0x40 // 
_s_load_b128 s[48:51], s[sgprKernArgAddress:sgprKernArgAddress+1], 0x60 // 
_s_load_b64 s[52:53], s[sgprKernArgAddress:sgprKernArgAddress+1], 0x70 // 
_s_load_b32 s54, s[sgprKernArgAddress:sgprKernArgAddress+1], 0x78 // 
s_mov_b32 m0, 0x8200                               // LDS clamp at 33280 bytes
v_mov_b32 v[vgprSerial], v0                        // thread serial id

/******************************************/
/* Local Read Addresses                   */
/******************************************/


/* local read addresses: tile assignments a/b */

/*lr0I*/
v_and_b32 v1, 63, v[vgprSerial]                    // 0. thread id in wave: wtid = tid % wavelength(64)
v_and_b32 v0, 15, v1                               // 1. N offset: nIdx = wtid % MI_N(16)
                                                   // 1. N offset: nOffset = nIdx * nStride(1) (multiplier is 1, do nothing)
                                                   // 2. block offset: bnIdx = bnIdx % num1DBlocks(1) is 0. do nothing
v_lshlrev_b32 v0, 0x1, v0                          // 4. apply VectorWidth: bnOffset = bnOffset * vw(2)
v_lshrrev_b32 v1, 4, v1                            // 5. K offset: kIdx = wtid / (MIN(16) * MIBB(1))
v_lshlrev_b32 v1, 0xa, v1                          // 5. K offset: lrKOffset = kIdx * mStride(1024)
_v_add_u32 v0, v1, v0                              // 6. offset in wave: lrOffset = bnOffset + lrKOffset
v_lshrrev_b32 v2, 6, v[vgprSerial]                 // 7. wave offset in N dimen: wtid = tid / dividedForWaveId(64)
v_and_b32 v1, 1, v2                                // 7. wave offset in M dimen: wtid0 = wtid / num1DWaves(2)
v_lshlrev_b32 v1, 0x5, v1                          // 7. wave offset in M dimen: wOffset = wtid0 * W0Stride(32)
_v_add_u32 v0, v1, v0                              // 8. final local read offset: flrOffset = lrOffset + WOffset
/*lr1J*/
v_and_b32 v2, 63, v[vgprSerial]                    // 0. thread id in wave: wtid = tid % wavelength(64)
v_and_b32 v1, 15, v2                               // 1. N offset: nIdx = wtid % MI_N(16)
                                                   // 1. N offset: nOffset = nIdx * nStride(1) (multiplier is 1, do nothing)
                                                   // 2. block offset: bnIdx = bnIdx % num1DBlocks(1) is 0. do nothing
                                                   // 4. apply VectorWidth: bnOffset = bnOffset * vw(1) (multiplier is 1, do nothing)
v_lshrrev_b32 v2, 4, v2                            // 5. K offset: kIdx = wtid / (MIN(16) * MIBB(1))
v_lshlrev_b32 v2, 0xa, v2                          // 5. K offset: lrKOffset = kIdx * mStride(1024)
_v_add_u32 v1, v2, v1                              // 6. offset in wave: lrOffset = bnOffset + lrKOffset
v_lshrrev_b32 v3, 7, v[vgprSerial]                 // 7. wave offset in N dimen: wtid = tid / dividedForWaveId(128)
v_and_b32 v2, 1, v3                                // 7. wave offset in M dimen: wtid0 = wtid / num1DWaves(2)
v_lshlrev_b32 v2, 0x4, v2                          // 7. wave offset in M dimen: wOffset = wtid0 * W0Stride(16)
_v_add_u32 v1, v2, v1                              // 8. final local read offset: flrOffset = lrOffset + WOffset


/* local read addresses: final offsets a */

v_lshlrev_b32 v[vgprLocalReadAddrA], 0x1, v0       // Final Offset: offset = (lro0)*bpe


/* local read addresses: final offsets b */

v_lshlrev_b32 v[vgprLocalReadAddrB], 0x1, v1       // Final Offset: offset = (lro1)*bpe
v_lshrrev_b32 v0, 11, v[vgprLocalReadAddrB]        // Final Offset: padding 32 per block 2048
v_lshlrev_b32 v0, 0x6, v0                          // Final Offset: padding 32 per block 2048
_v_add_u32 v[vgprLocalReadAddrB], v0, v[vgprLocalReadAddrB] // Final Offset: add padding 32 per block 2048


/* local read addresses: declare addresses a */

/* N/A */


/* local read addresses: declare addresses b */

_v_add_co_u32 v[vgprLocalReadAddrB+0], vcc, 0x4000, v[vgprLocalReadAddrB+0] //  += LdsOffsetB (lower)


/* global read addresses: tile offset assignment a */

/* LVCA = 16 */
/* v0 = (local)groA-tile = serial%LVCA (note (wgA*MTA) will be added to SRD) */
/* v1 = groA-unroll = serial/LVCA */
v_and_b32 v2, 63, v[vgprSerial]                    // v2 = v[vgprSerial] % 64
v_lshrrev_b32 v1, 4, v2                            // v1 = v2 / 16
v_and_b32 v0, 15, v2                               // v0 = v2 % 16
v_readfirstlane_b32 s56, v[vgprSerial]             // WaveIdxWavefrontWidth
s_lshr_b32 s56, s56, 0x6                           // WaveId
s_mul_i32 s56, s56, 8                              // Global Read Wave: each wave loads continuous lsp(4)*nrp(2) columns
_v_add_u32 v1, s56, v1                             // Global Read Wave: add back to column index
/* gro-tile *= glvw */
v_lshlrev_b32 v0, 0x3, v0                          // v0 = v0 * 8


/* global read addresses: tile offset assignment b */

/* LVCB = 16 */
/* v2 = (local)groB-tile = serial%LVCB (note (wgB*MTB) will be added to SRD) */
/* v3 = groB-unroll = serial/LVCB */
v_and_b32 v4, 63, v[vgprSerial]                    // v4 = v[vgprSerial] % 64
v_lshrrev_b32 v3, 4, v4                            // v3 = v4 / 16
v_and_b32 v2, 15, v4                               // v2 = v4 % 16
v_readfirstlane_b32 s56, v[vgprSerial]             // WaveIdxWavefrontWidth
s_lshr_b32 s56, s56, 0x6                           // WaveId
s_mul_i32 s56, s56, 8                              // Global Read Wave: each wave loads continuous lsp(4)*nrp(2) columns
_v_add_u32 v3, s56, v3                             // Global Read Wave: add back to column index
/* gro-tile *= glvw */
v_lshlrev_b32 v2, 0x3, v2                          // v2 = v2 * 8


/******************************************/
/* Local Write Addresses                  */
/******************************************/

/* lwaTileAssignmentA = v0 */

/* lwaTileAssignmentB = v2 */

/* lwaUnrollAssignmentA = v1 */

/* lwaUnrollAssignmentB = v3 */


/* local write addresses: first offset a */

v_mul_u32_u24 v[vgprLocalWriteAddrA], 0x100, v1    // lwAL**(MTA + PAD)
_v_add_lshl_u32 v[vgprLocalWriteAddrA], v0, v[vgprLocalWriteAddrA], 0x1 // lwFOA = (lwAA + lwAL*(MT0I+PAD))*bpe


/* local write addresses: first offset b */

v_mul_u32_u24 v[vgprLocalWriteAddrB], 0x100, v3    // lwBL**(MTB + PAD)
_v_add_lshl_u32 v[vgprLocalWriteAddrB], v2, v[vgprLocalWriteAddrB], 0x1 // lwFOB = (lwBB + lwBL*(MT1J+PAD))*bpe
v_lshrrev_b32 v4, 11, v[vgprLocalWriteAddrB]       // padding 32 per block 2048
v_lshlrev_b32 v4, 0x6, v4                          // padding 32 per block 2048
_v_add_u32 v[vgprLocalWriteAddrB], v4, v[vgprLocalWriteAddrB] // add padding 32 per block 2048
_v_add_co_u32 v[vgprLocalWriteAddrB], vcc, 0x4000, v[vgprLocalWriteAddrB] // lwFOB = lwB1J + lwBL*MT1J + LDS_OFFSET_B=8192*2


	;; [unrolled: 1-line block ×7, first 2 shown]
s_waitcnt lgkmcnt(0)                               // wait for 124 bytes of kern args
s_mov_b64 s[sgprSrdC+0:sgprSrdC+0+1], s[sgprAddressC+0:sgprAddressC+0+1] // copy addressC
s_mov_b64 s[sgprSrdD+0:sgprSrdD+0+1], s[sgprAddressD+0:sgprAddressD+0+1] // copy addressD
s_sub_u32 s[sgprSrdA+0], s[sgprAddressA+0], 16     // pre-pad to make room for possible pointer shift
s_subb_u32 s[sgprSrdA+1], s[sgprAddressA+1], 0     // pre-pad to make room for possible pointer shift
s_sub_u32 s[sgprSrdB+0], s[sgprAddressB+0], 16     // pre-pad to make room for possible pointer shift
s_subb_u32 s[sgprSrdB+1], s[sgprAddressB+1], 0     // pre-pad to make room for possible pointer shift

.set AddressD, UNDEF
.set AddressC, UNDEF
.set AddressA, UNDEF
.set AddressB, UNDEF

/* Short circuit condition if Alpha == 0, then sumDims=0 */
v_cmp_eq_f32 vcc, s[sgprAlpha], 0.0                // Alpha == 0.0f ?
s_cbranch_vccz label_AlphaNonZero                  // branch if alpha != 0
s_mov_b32 s[sgprSizesSum+0], 0x0                   // Set summation dim=0 if Alpha == 0
label_AlphaNonZero:
s_mov_b32 s[sgprPackKForV0], 0x05040100            // half pack value 0 for v_perm_b32
s_mov_b32 s[sgprPackKForV1], 0x07060302            // half pack value 1 for v_perm_b32



/******************************************/
/* Begin setupNewTile, isPap=False           */
/******************************************/


/* global read addresses: work-group */

/* graWorkGroup mapping */
s_mov_b32 s65, 0x8000001L                          // magic number for WGM==16
s_mul_hi_u32 s63, s[sgprWorkGroup1], s65           // s_magic mul
s_mul_i32 s62, s[sgprWorkGroup1], s65              // s_magic mul
s_lshr_b64 s[62:63], s[62:63], 31                  // sMagicDiv
s_mul_i32 s63, s62, 16                             // quotient * non-magic divisor
s_sub_u32 s63, s[sgprWorkGroup1], s63              // WorkGroup1=remainder
s_mul_i32 s63, s63, s[sgprNumWorkGroups0]          // (wg1 % WGM)*nwg0
s_add_u32 s63, s63, s[sgprWorkGroup0]              // wgSerial = wg0 + (wg1 % WGM)*nwg1
s_cmp_ge_u32 s62, s[sgprNumFullBlocks]             // blockId >= numFullBlocks ?
s_cmov_b32 s65, s[sgprMagicNumberWgmRemainder1]    // 
s_cselect_b32 s64, s[sgprWgmRemainder1], 16        // 
s_mul_hi_u32 s3, s63, s65                          // s_magic mul
s_mul_i32 s2, s63, s65                             // s_magic mul
s_lshr_b64 s[2:3], s[2:3], 31                      // sMagicDiv
s_mul_i32 s[sgprWorkGroup1], s[sgprWorkGroup0], s64 // quotient * non-magic divisor
s_sub_u32 s[sgprWorkGroup1], s63, s[sgprWorkGroup1] // WorkGroup1=remainder
s_mul_i32 s62, s62, 16                             // blockId * WGM
s_add_u32 s[sgprWorkGroup1], s[sgprWorkGroup1], s62 // wg1 += blockId * WGM


/* global read addresses: unroll assignment a */

/* v1 */


/* global read addresses: unroll assignment b */

/* v3 */


/* global read addresses: other free assignments */

/* s[sgprWorkGroup2] */


/* global read addresses: tile offsets a */


	;; [unrolled: 1-line block ×3, first 2 shown]
/* global read addresses: tile offsets b */


	;; [unrolled: 1-line block ×3, first 2 shown]
/* global read addresses: unroll offsets a */



/* global read addresses: unroll offsets b */


	;; [unrolled: 1-line block ×3, first 2 shown]
/* global read addresses: final offsets a */

GLOBAL_OFFSET_A vgprGlobalReadOffsetA+0,  0,  1, 4 // gROA_0_0_0_0
s_mul_i32 s[sgprScalarGlobalReadOffsetA+0], s[sgprStrideAL], 0 // compute offset diff (scaled unrollDim)
s_add_u32 s[sgprScalarGlobalReadOffsetA+0], s[sgprScalarGlobalReadOffsetA+0], 128 // compute offset diff (tileDim)
s_lshl_b32 s[sgprScalarGlobalReadOffsetA+0], s[sgprScalarGlobalReadOffsetA+0], 0x1 // scalar offset *= bytes/element
s_mul_i32 s[sgprScalarGlobalReadOffsetA+1], s[sgprStrideAL], 4 // compute offset diff (scaled unrollDim)
s_lshl_b32 s[sgprScalarGlobalReadOffsetA+1], s[sgprScalarGlobalReadOffsetA+1], 0x1 // scalar offset *= bytes/element
s_mul_i32 s[sgprScalarGlobalReadOffsetA+2], s[sgprStrideAL], 4 // compute offset diff (scaled unrollDim)
s_add_u32 s[sgprScalarGlobalReadOffsetA+2], s[sgprScalarGlobalReadOffsetA+2], 128 // compute offset diff (tileDim)
s_lshl_b32 s[sgprScalarGlobalReadOffsetA+2], s[sgprScalarGlobalReadOffsetA+2], 0x1 // scalar offset *= bytes/element


/* global read addresses: final offsets b */

GLOBAL_OFFSET_B vgprGlobalReadOffsetB+0,  2,  3, 4 // gROB_0_0_0_0
s_mul_i32 s[sgprScalarGlobalReadOffsetB+0], s[sgprStrideBL], 0 // compute offset diff (scaled unrollDim)
s_add_u32 s[sgprScalarGlobalReadOffsetB+0], s[sgprScalarGlobalReadOffsetB+0], 128 // compute offset diff (tileDim)
s_lshl_b32 s[sgprScalarGlobalReadOffsetB+0], s[sgprScalarGlobalReadOffsetB+0], 0x1 // scalar offset *= bytes/element
s_mul_i32 s[sgprScalarGlobalReadOffsetB+1], s[sgprStrideBL], 4 // compute offset diff (scaled unrollDim)
s_lshl_b32 s[sgprScalarGlobalReadOffsetB+1], s[sgprScalarGlobalReadOffsetB+1], 0x1 // scalar offset *= bytes/element
s_mul_i32 s[sgprScalarGlobalReadOffsetB+2], s[sgprStrideBL], 4 // compute offset diff (scaled unrollDim)
s_add_u32 s[sgprScalarGlobalReadOffsetB+2], s[sgprScalarGlobalReadOffsetB+2], 128 // compute offset diff (tileDim)
s_lshl_b32 s[sgprScalarGlobalReadOffsetB+2], s[sgprScalarGlobalReadOffsetB+2], 0x1 // scalar offset *= bytes/element


/* global read addresses: addresses a */

/* max read offset = size[n] * stride[n-1] */
s_mul_hi_u32 s65, s[sgprWorkGroup0], 256           // WorkGroup[01] * MT
s_mul_i32 s64, s[sgprWorkGroup0], 256              // WorkGroup[01] * MT
s_sub_u32 s[sgprShadowLimitA+0], s[sgprTensor2dSizeA], s64 // sub tileStart
s_subb_u32 s[sgprShadowLimitA+1], s[sgprTensor2dSizeA+1], s65 // sub tileStart
s_lshl_b64 s[sgprShadowLimitA:sgprShadowLimitA+1], s[sgprShadowLimitA:sgprShadowLimitA+1], 0x1 // Set limit to use bytes
s_add_u32 s[sgprShadowLimitA+0], s[sgprShadowLimitA+0], 16 // extend limit for pre-pad
s_addc_u32 s[sgprShadowLimitA+1], s[sgprShadowLimitA+1], 0 // extend limit for pre-pad
s_cmp_eq_u32 s[sgprShadowLimitA+1], 0              // are we within 2^32?
s_cselect_b32 s[sgprSrdA+2], s[sgprShadowLimitA+0], BufferLimitA // Move shadow to real if we are within 2^32
s_mul_hi_u32 s63, s[sgprStrideAK], s[sgprWorkGroup2] // Stride*WG
s_mul_i32 s62, s[sgprStrideAK], s[sgprWorkGroup2]  // Stride*WG
s_add_u32 s64, s64, s62                            // accum wg term to tilestart
s_addc_u32 s65, s65, s63                           // accum wg term to tilestart
s_lshl_b64 s[64:65], s[64:65], 0x1                 // tileStart *= BPE
s_add_u32 s[sgprSrdA+0], s[sgprSrdA+0], s64        // SRD base = Address+ tileStart0
s_addc_u32 s[sgprSrdA+1], s[sgprSrdA+1], s65       // SRD base = Address+ tileStart1
s_mov_b32 s[sgprSrdA+3], Srd127_96                 // Set bits 127_96 in SRD


/* global read addresses: addresses b */

/* max read offset = size[n] * stride[n-1] */
s_mul_hi_u32 s65, s[sgprWorkGroup1], 256           // WorkGroup[01] * MT
s_mul_i32 s64, s[sgprWorkGroup1], 256              // WorkGroup[01] * MT
s_sub_u32 s[sgprShadowLimitB+0], s[sgprTensor2dSizeB], s64 // sub tileStart
s_subb_u32 s[sgprShadowLimitB+1], s[sgprTensor2dSizeB+1], s65 // sub tileStart
s_lshl_b64 s[sgprShadowLimitB:sgprShadowLimitB+1], s[sgprShadowLimitB:sgprShadowLimitB+1], 0x1 // Set limit to use bytes
s_add_u32 s[sgprShadowLimitB+0], s[sgprShadowLimitB+0], 16 // extend limit for pre-pad
s_addc_u32 s[sgprShadowLimitB+1], s[sgprShadowLimitB+1], 0 // extend limit for pre-pad
s_cmp_eq_u32 s[sgprShadowLimitB+1], 0              // are we within 2^32?
s_cselect_b32 s[sgprSrdB+2], s[sgprShadowLimitB+0], BufferLimitB // Move shadow to real if we are within 2^32
s_mul_hi_u32 s63, s[sgprStrideBK], s[sgprWorkGroup2] // Stride*WG
s_mul_i32 s62, s[sgprStrideBK], s[sgprWorkGroup2]  // Stride*WG
s_add_u32 s64, s64, s62                            // accum wg term to tilestart
s_addc_u32 s65, s65, s63                           // accum wg term to tilestart
s_lshl_b64 s[64:65], s[64:65], 0x1                 // tileStart *= BPE
s_add_u32 s[sgprSrdB+0], s[sgprSrdB+0], s64        // SRD base = Address+ tileStart0
s_addc_u32 s[sgprSrdB+1], s[sgprSrdB+1], s65       // SRD base = Address+ tileStart1
s_mov_b32 s[sgprSrdB+3], Srd127_96                 // Set bits 127_96 in SRD


/* global read addresses: increments a */

s_mul_i32 s[sgprGlobalReadIncsA+0], DepthU*BpeA, s[sgprStrideAL] // incrA unrollIdx)


/* global read addresses: increments b */

s_mul_i32 s[sgprGlobalReadIncsB+0], DepthU*BpeB, s[sgprStrideBL] // incrB unrollIdx)

/* declare loop num iterations */


s_lshr_b32 s[sgprLoopCounterL], s[sgprSizesSum+0], 5 // s[sgprLoopCounterL] = s[sgprSizesSum+0] / 32
s_mov_b32 s[sgprOrigLoopCounter], s[sgprLoopCounterL] // copy loop counter

/* local read addresses: init pointers a */


/* localReadInitPointers */

/* local read addresses: init pointers b */


/* localReadInitPointers */


/* prefetch: global -> local */

s_cmp_eq_u32 s[sgprLoopCounterL], 0                // at last iteration?
s_setprio 0                                        // optimization store
s_cbranch_scc1 ShadowInitStart_10                  // skip to ShadowInitStart iter b/c numIter==0


_buffer_load_b128 v[vgprG2LA+0:vgprG2LA+0+3], v[vgprGlobalReadOffsetA+0], s[sgprSrdA:sgprSrdA+3], 0, offen offset:0 // G -> Reg 0_0_0_0
_buffer_load_b128 v[vgprG2LA+4:vgprG2LA+4+3], v[vgprGlobalReadOffsetA+0], s[sgprSrdA:sgprSrdA+3], s[sgprScalarGlobalReadOffsetA+0], offen offset:0 // G -> Reg 1_0_0_0
_buffer_load_b128 v[vgprG2LA+8:vgprG2LA+8+3], v[vgprGlobalReadOffsetA+0], s[sgprSrdA:sgprSrdA+3], s[sgprScalarGlobalReadOffsetA+1], offen offset:0 // G -> Reg 0_0_1_0
_buffer_load_b128 v[vgprG2LA+12:vgprG2LA+12+3], v[vgprGlobalReadOffsetA+0], s[sgprSrdA:sgprSrdA+3], s[sgprScalarGlobalReadOffsetA+2], offen offset:0 // G -> Reg 1_0_1_0


_buffer_load_b128 v[vgprG2LB+0:vgprG2LB+0+3], v[vgprGlobalReadOffsetB+0], s[sgprSrdB:sgprSrdB+3], 0, offen offset:0 // G -> Reg 0_0_0_0
_buffer_load_b128 v[vgprG2LB+4:vgprG2LB+4+3], v[vgprGlobalReadOffsetB+0], s[sgprSrdB:sgprSrdB+3], s[sgprScalarGlobalReadOffsetB+0], offen offset:0 // G -> Reg 1_0_0_0
_buffer_load_b128 v[vgprG2LB+8:vgprG2LB+8+3], v[vgprGlobalReadOffsetB+0], s[sgprSrdB:sgprSrdB+3], s[sgprScalarGlobalReadOffsetB+1], offen offset:0 // G -> Reg 0_0_1_0
_buffer_load_b128 v[vgprG2LB+12:vgprG2LB+12+3], v[vgprGlobalReadOffsetB+0], s[sgprSrdB:sgprSrdB+3], s[sgprScalarGlobalReadOffsetB+2], offen offset:0 // G -> Reg 1_0_1_0


/* global read inc A loopL */
s_add_u32 s[sgprSrdA+0], s[sgprSrdA+0], s[sgprGlobalReadIncsA+0] // gra SRD += inc(lower)
s_addc_u32  s[sgprSrdA+1], s[sgprSrdA+1], 0        // gra SRD += inc(upper)
s_sub_u32 s[sgprShadowLimitA+0], s[sgprShadowLimitA+0], s[sgprGlobalReadIncsA+0] // limit -= inc)
s_subb_u32 s[sgprShadowLimitA+1], s[sgprShadowLimitA+1], 0 // limit -= inc)
s_cmp_eq_u32 s[sgprShadowLimitA+1], 0              // are we within 2^32?
s_cmov_b32 s[sgprSrdA+2], s[sgprShadowLimitA+0]    // Move shadow to real if we are within 2^32

/* global read inc B loopL */
s_add_u32 s[sgprSrdB+0], s[sgprSrdB+0], s[sgprGlobalReadIncsB+0] // gra SRD += inc(lower)
s_addc_u32  s[sgprSrdB+1], s[sgprSrdB+1], 0        // gra SRD += inc(upper)
s_sub_u32 s[sgprShadowLimitB+0], s[sgprShadowLimitB+0], s[sgprGlobalReadIncsB+0] // limit -= inc)
s_subb_u32 s[sgprShadowLimitB+1], s[sgprShadowLimitB+1], 0 // limit -= inc)
s_cmp_eq_u32 s[sgprShadowLimitB+1], 0              // are we within 2^32?
s_cmov_b32 s[sgprSrdB+2], s[sgprShadowLimitB+0]    // Move shadow to real if we are within 2^32


/******************************************/
/* End setupNewTile, isPap=False             */
/******************************************/

ShadowInitStart_10: // 

s_mov_b32 s[sgprSrdD+2], BufferOOB                 // 
s_mov_b32 s[sgprSrdD+3], Srd127_96                 // Set bits 127_96 in post-loop SRD

s_mov_b32 s[sgprSrdC+2], BufferOOB                 // 
s_mov_b32 s[sgprSrdC+3], Srd127_96                 // Set bits 127_96 in post-loop SRD


s_mul_i32 s64, MT1, s[sgprWorkGroup1]              // <- wg1*MT1
s_mul_hi_u32 s63, s64, s[sgprStrideC1J]            // CScale s64 by Stride
s_mul_i32 s62, s64, s[sgprStrideC1J]               // CScale s64 by Stride
s_lshl_b64 s[62:63], s[62:63], 1                   // scale by bpe
s_add_u32 s[sgprSrdC+0], s[sgprSrdC+0], s62        // add lo to SRD
s_addc_u32 s[sgprSrdC+1], s[sgprSrdC+1], s63       // add hi to SRD
s_mul_hi_u32 s63, s64, s[sgprStrideD1J]            // Scale s64 by Stride
s_mul_i32 s62, s64, s[sgprStrideD1J]               // Scale s64 by Stride
s_lshl_b64 s[62:63], s[62:63], 1                   // scale by bpe
s_add_u32 s[sgprSrdD+0], s[sgprSrdD+0], s62        // add lo to SRD
s_addc_u32 s[sgprSrdD+1], s[sgprSrdD+1], s63       // add hi to SRD

s_mul_hi_u32 s63, s[sgprWorkGroup2], s[sgprStrideCK] // CScale s[sgprWorkGroup2] by Stride
s_mul_i32 s62, s[sgprWorkGroup2], s[sgprStrideCK]  // CScale s[sgprWorkGroup2] by Stride
s_lshl_b64 s[62:63], s[62:63], 1                   // scale by bpe
s_add_u32 s[sgprSrdC+0], s[sgprSrdC+0], s62        // add lo to SRD
s_addc_u32 s[sgprSrdC+1], s[sgprSrdC+1], s63       // add hi to SRD
s_mul_hi_u32 s63, s[sgprWorkGroup2], s[sgprStrideDK] // Scale s[sgprWorkGroup2] by Stride
s_mul_i32 s62, s[sgprWorkGroup2], s[sgprStrideDK]  // Scale s[sgprWorkGroup2] by Stride
s_lshl_b64 s[62:63], s[62:63], 1                   // scale by bpe
s_add_u32 s[sgprSrdD+0], s[sgprSrdD+0], s62        // add lo to SRD
s_addc_u32 s[sgprSrdD+1], s[sgprSrdD+1], s63       // add hi to SRD


	;; [unrolled: 1-line block ×3, first 2 shown]
/* initC: remove C-tile 0-0 from pool */

/* initC: remove AB-tile 0-112 from pool */
v_accvgpr_write acc0, 0x0                          // initC
v_accvgpr_write acc1, 0x0                          // initC
v_accvgpr_write acc2, 0x0                          // initC
v_accvgpr_write acc3, 0x0                          // initC
v_accvgpr_write acc4, 0x0                          // initC
v_accvgpr_write acc5, 0x0                          // initC
v_accvgpr_write acc6, 0x0                          // initC
v_accvgpr_write acc7, 0x0                          // initC
v_accvgpr_write acc8, 0x0                          // initC
v_accvgpr_write acc9, 0x0                          // initC
v_accvgpr_write acc10, 0x0                         // initC
v_accvgpr_write acc11, 0x0                         // initC
v_accvgpr_write acc12, 0x0                         // initC
v_accvgpr_write acc13, 0x0                         // initC
v_accvgpr_write acc14, 0x0                         // initC
v_accvgpr_write acc15, 0x0                         // initC
v_accvgpr_write acc16, 0x0                         // initC
v_accvgpr_write acc17, 0x0                         // initC
v_accvgpr_write acc18, 0x0                         // initC
v_accvgpr_write acc19, 0x0                         // initC
v_accvgpr_write acc20, 0x0                         // initC
v_accvgpr_write acc21, 0x0                         // initC
v_accvgpr_write acc22, 0x0                         // initC
v_accvgpr_write acc23, 0x0                         // initC
v_accvgpr_write acc24, 0x0                         // initC
v_accvgpr_write acc25, 0x0                         // initC
v_accvgpr_write acc26, 0x0                         // initC
v_accvgpr_write acc27, 0x0                         // initC
v_accvgpr_write acc28, 0x0                         // initC
v_accvgpr_write acc29, 0x0                         // initC
v_accvgpr_write acc30, 0x0                         // initC
v_accvgpr_write acc31, 0x0                         // initC
v_accvgpr_write acc32, 0x0                         // initC
v_accvgpr_write acc33, 0x0                         // initC
v_accvgpr_write acc34, 0x0                         // initC
v_accvgpr_write acc35, 0x0                         // initC
v_accvgpr_write acc36, 0x0                         // initC
v_accvgpr_write acc37, 0x0                         // initC
v_accvgpr_write acc38, 0x0                         // initC
v_accvgpr_write acc39, 0x0                         // initC
v_accvgpr_write acc40, 0x0                         // initC
v_accvgpr_write acc41, 0x0                         // initC
v_accvgpr_write acc42, 0x0                         // initC
v_accvgpr_write acc43, 0x0                         // initC
v_accvgpr_write acc44, 0x0                         // initC
v_accvgpr_write acc45, 0x0                         // initC
v_accvgpr_write acc46, 0x0                         // initC
v_accvgpr_write acc47, 0x0                         // initC
v_accvgpr_write acc48, 0x0                         // initC
v_accvgpr_write acc49, 0x0                         // initC
v_accvgpr_write acc50, 0x0                         // initC
v_accvgpr_write acc51, 0x0                         // initC
v_accvgpr_write acc52, 0x0                         // initC
v_accvgpr_write acc53, 0x0                         // initC
v_accvgpr_write acc54, 0x0                         // initC
v_accvgpr_write acc55, 0x0                         // initC
v_accvgpr_write acc56, 0x0                         // initC
v_accvgpr_write acc57, 0x0                         // initC
v_accvgpr_write acc58, 0x0                         // initC
v_accvgpr_write acc59, 0x0                         // initC
v_accvgpr_write acc60, 0x0                         // initC
v_accvgpr_write acc61, 0x0                         // initC
v_accvgpr_write acc62, 0x0                         // initC
v_accvgpr_write acc63, 0x0                         // initC
v_accvgpr_write acc64, 0x0                         // initC
v_accvgpr_write acc65, 0x0                         // initC
v_accvgpr_write acc66, 0x0                         // initC
v_accvgpr_write acc67, 0x0                         // initC
v_accvgpr_write acc68, 0x0                         // initC
v_accvgpr_write acc69, 0x0                         // initC
v_accvgpr_write acc70, 0x0                         // initC
v_accvgpr_write acc71, 0x0                         // initC
v_accvgpr_write acc72, 0x0                         // initC
v_accvgpr_write acc73, 0x0                         // initC
v_accvgpr_write acc74, 0x0                         // initC
v_accvgpr_write acc75, 0x0                         // initC
v_accvgpr_write acc76, 0x0                         // initC
v_accvgpr_write acc77, 0x0                         // initC
v_accvgpr_write acc78, 0x0                         // initC
v_accvgpr_write acc79, 0x0                         // initC
v_accvgpr_write acc80, 0x0                         // initC
v_accvgpr_write acc81, 0x0                         // initC
v_accvgpr_write acc82, 0x0                         // initC
v_accvgpr_write acc83, 0x0                         // initC
v_accvgpr_write acc84, 0x0                         // initC
v_accvgpr_write acc85, 0x0                         // initC
v_accvgpr_write acc86, 0x0                         // initC
v_accvgpr_write acc87, 0x0                         // initC
v_accvgpr_write acc88, 0x0                         // initC
v_accvgpr_write acc89, 0x0                         // initC
v_accvgpr_write acc90, 0x0                         // initC
v_accvgpr_write acc91, 0x0                         // initC
v_accvgpr_write acc92, 0x0                         // initC
v_accvgpr_write acc93, 0x0                         // initC
v_accvgpr_write acc94, 0x0                         // initC
v_accvgpr_write acc95, 0x0                         // initC
v_accvgpr_write acc96, 0x0                         // initC
v_accvgpr_write acc97, 0x0                         // initC
v_accvgpr_write acc98, 0x0                         // initC
v_accvgpr_write acc99, 0x0                         // initC
v_accvgpr_write acc100, 0x0                        // initC
v_accvgpr_write acc101, 0x0                        // initC
v_accvgpr_write acc102, 0x0                        // initC
v_accvgpr_write acc103, 0x0                        // initC
v_accvgpr_write acc104, 0x0                        // initC
v_accvgpr_write acc105, 0x0                        // initC
v_accvgpr_write acc106, 0x0                        // initC
v_accvgpr_write acc107, 0x0                        // initC
v_accvgpr_write acc108, 0x0                        // initC
v_accvgpr_write acc109, 0x0                        // initC
v_accvgpr_write acc110, 0x0                        // initC
v_accvgpr_write acc111, 0x0                        // initC
v_accvgpr_write acc112, 0x0                        // initC
v_accvgpr_write acc113, 0x0                        // initC
v_accvgpr_write acc114, 0x0                        // initC
v_accvgpr_write acc115, 0x0                        // initC
v_accvgpr_write acc116, 0x0                        // initC
v_accvgpr_write acc117, 0x0                        // initC
v_accvgpr_write acc118, 0x0                        // initC
v_accvgpr_write acc119, 0x0                        // initC
v_accvgpr_write acc120, 0x0                        // initC
v_accvgpr_write acc121, 0x0                        // initC
v_accvgpr_write acc122, 0x0                        // initC
v_accvgpr_write acc123, 0x0                        // initC
v_accvgpr_write acc124, 0x0                        // initC
v_accvgpr_write acc125, 0x0                        // initC
v_accvgpr_write acc126, 0x0                        // initC
v_accvgpr_write acc127, 0x0                        // initC
v_accvgpr_write acc128, 0x0                        // initC
v_accvgpr_write acc129, 0x0                        // initC
v_accvgpr_write acc130, 0x0                        // initC
v_accvgpr_write acc131, 0x0                        // initC
v_accvgpr_write acc132, 0x0                        // initC
v_accvgpr_write acc133, 0x0                        // initC
v_accvgpr_write acc134, 0x0                        // initC
v_accvgpr_write acc135, 0x0                        // initC
v_accvgpr_write acc136, 0x0                        // initC
v_accvgpr_write acc137, 0x0                        // initC
v_accvgpr_write acc138, 0x0                        // initC
v_accvgpr_write acc139, 0x0                        // initC
v_accvgpr_write acc140, 0x0                        // initC
v_accvgpr_write acc141, 0x0                        // initC
v_accvgpr_write acc142, 0x0                        // initC
v_accvgpr_write acc143, 0x0                        // initC
v_accvgpr_write acc144, 0x0                        // initC
v_accvgpr_write acc145, 0x0                        // initC
v_accvgpr_write acc146, 0x0                        // initC
v_accvgpr_write acc147, 0x0                        // initC
v_accvgpr_write acc148, 0x0                        // initC
v_accvgpr_write acc149, 0x0                        // initC
v_accvgpr_write acc150, 0x0                        // initC
v_accvgpr_write acc151, 0x0                        // initC
v_accvgpr_write acc152, 0x0                        // initC
v_accvgpr_write acc153, 0x0                        // initC
v_accvgpr_write acc154, 0x0                        // initC
v_accvgpr_write acc155, 0x0                        // initC
v_accvgpr_write acc156, 0x0                        // initC
v_accvgpr_write acc157, 0x0                        // initC
v_accvgpr_write acc158, 0x0                        // initC
v_accvgpr_write acc159, 0x0                        // initC
v_accvgpr_write acc160, 0x0                        // initC
v_accvgpr_write acc161, 0x0                        // initC
v_accvgpr_write acc162, 0x0                        // initC
v_accvgpr_write acc163, 0x0                        // initC
v_accvgpr_write acc164, 0x0                        // initC
v_accvgpr_write acc165, 0x0                        // initC
v_accvgpr_write acc166, 0x0                        // initC
v_accvgpr_write acc167, 0x0                        // initC
v_accvgpr_write acc168, 0x0                        // initC
v_accvgpr_write acc169, 0x0                        // initC
v_accvgpr_write acc170, 0x0                        // initC
v_accvgpr_write acc171, 0x0                        // initC
v_accvgpr_write acc172, 0x0                        // initC
v_accvgpr_write acc173, 0x0                        // initC
v_accvgpr_write acc174, 0x0                        // initC
v_accvgpr_write acc175, 0x0                        // initC
v_accvgpr_write acc176, 0x0                        // initC
v_accvgpr_write acc177, 0x0                        // initC
v_accvgpr_write acc178, 0x0                        // initC
v_accvgpr_write acc179, 0x0                        // initC
v_accvgpr_write acc180, 0x0                        // initC
v_accvgpr_write acc181, 0x0                        // initC
v_accvgpr_write acc182, 0x0                        // initC
v_accvgpr_write acc183, 0x0                        // initC
v_accvgpr_write acc184, 0x0                        // initC
v_accvgpr_write acc185, 0x0                        // initC
v_accvgpr_write acc186, 0x0                        // initC
v_accvgpr_write acc187, 0x0                        // initC
v_accvgpr_write acc188, 0x0                        // initC
v_accvgpr_write acc189, 0x0                        // initC
v_accvgpr_write acc190, 0x0                        // initC
v_accvgpr_write acc191, 0x0                        // initC
v_accvgpr_write acc192, 0x0                        // initC
v_accvgpr_write acc193, 0x0                        // initC
v_accvgpr_write acc194, 0x0                        // initC
v_accvgpr_write acc195, 0x0                        // initC
v_accvgpr_write acc196, 0x0                        // initC
v_accvgpr_write acc197, 0x0                        // initC
v_accvgpr_write acc198, 0x0                        // initC
v_accvgpr_write acc199, 0x0                        // initC
v_accvgpr_write acc200, 0x0                        // initC
v_accvgpr_write acc201, 0x0                        // initC
v_accvgpr_write acc202, 0x0                        // initC
v_accvgpr_write acc203, 0x0                        // initC
v_accvgpr_write acc204, 0x0                        // initC
v_accvgpr_write acc205, 0x0                        // initC
v_accvgpr_write acc206, 0x0                        // initC
v_accvgpr_write acc207, 0x0                        // initC
v_accvgpr_write acc208, 0x0                        // initC
v_accvgpr_write acc209, 0x0                        // initC
v_accvgpr_write acc210, 0x0                        // initC
v_accvgpr_write acc211, 0x0                        // initC
v_accvgpr_write acc212, 0x0                        // initC
v_accvgpr_write acc213, 0x0                        // initC
v_accvgpr_write acc214, 0x0                        // initC
v_accvgpr_write acc215, 0x0                        // initC
v_accvgpr_write acc216, 0x0                        // initC
v_accvgpr_write acc217, 0x0                        // initC
v_accvgpr_write acc218, 0x0                        // initC
v_accvgpr_write acc219, 0x0                        // initC
v_accvgpr_write acc220, 0x0                        // initC
v_accvgpr_write acc221, 0x0                        // initC
v_accvgpr_write acc222, 0x0                        // initC
v_accvgpr_write acc223, 0x0                        // initC
v_accvgpr_write acc224, 0x0                        // initC
v_accvgpr_write acc225, 0x0                        // initC
v_accvgpr_write acc226, 0x0                        // initC
v_accvgpr_write acc227, 0x0                        // initC
v_accvgpr_write acc228, 0x0                        // initC
v_accvgpr_write acc229, 0x0                        // initC
v_accvgpr_write acc230, 0x0                        // initC
v_accvgpr_write acc231, 0x0                        // initC
v_accvgpr_write acc232, 0x0                        // initC
v_accvgpr_write acc233, 0x0                        // initC
v_accvgpr_write acc234, 0x0                        // initC
v_accvgpr_write acc235, 0x0                        // initC
v_accvgpr_write acc236, 0x0                        // initC
v_accvgpr_write acc237, 0x0                        // initC
v_accvgpr_write acc238, 0x0                        // initC
v_accvgpr_write acc239, 0x0                        // initC
v_accvgpr_write acc240, 0x0                        // initC
v_accvgpr_write acc241, 0x0                        // initC
v_accvgpr_write acc242, 0x0                        // initC
v_accvgpr_write acc243, 0x0                        // initC
v_accvgpr_write acc244, 0x0                        // initC
v_accvgpr_write acc245, 0x0                        // initC
v_accvgpr_write acc246, 0x0                        // initC
v_accvgpr_write acc247, 0x0                        // initC
v_accvgpr_write acc248, 0x0                        // initC
v_accvgpr_write acc249, 0x0                        // initC
v_accvgpr_write acc250, 0x0                        // initC
v_accvgpr_write acc251, 0x0                        // initC
v_accvgpr_write acc252, 0x0                        // initC
v_accvgpr_write acc253, 0x0                        // initC
v_accvgpr_write acc254, 0x0                        // initC
v_accvgpr_write acc255, 0x0                        // initC

s_cmp_eq_u32 s[sgprLoopCounterL], 0                // at last iteration?

/* after InitC, skip to end of prefetch last iter if numIter==0 */
s_cbranch_scc0 label_NoBranch_11                   // Only branch on scc1
s_getpc_B64 s[62:63]                               // addr of next instr
s_add_i32 s64, PrefetchGlobalLastIterEnd_5, 0x4    // target branch offset
s_add_u32 s62, s62, s64                            // add target branch offset
s_addc_u32 s63, s63, 0                             // add high and carry
s_setpc_b64 s[62:63]                               // branch to PrefetchGlobalLastIterEnd_5
label_NoBranch_11:

s_waitcnt vmcnt(0)                                 // lgkmcnt=-1 vmcnt=0 8wait for global read


/* local write a */
_ds_store_b128 v[vgprLocalWriteAddrA], v[vgprG2LA+0:vgprG2LA+0+3] offset:0 // lwoA_0_0_0_0 = (0*LSCA) + (0*LSPA)(*MT0I+PAD) = 0
_ds_store_b128 v[vgprLocalWriteAddrA], v[vgprG2LA+4:vgprG2LA+4+3] offset:256 // lwoA_1_0_0_0 = (1*LSCA) + (0*LSPA)(*MT0I+PAD) = 256
_ds_store_b128 v[vgprLocalWriteAddrA], v[vgprG2LA+8:vgprG2LA+8+3] offset:2048 // lwoA_0_0_1_0 = (0*LSCA) + (1*LSPA)(*MT0I+PAD) = 2048
_ds_store_b128 v[vgprLocalWriteAddrA], v[vgprG2LA+12:vgprG2LA+12+3] offset:2304 // lwoA_1_0_1_0 = (1*LSCA) + (1*LSPA)(*MT0I+PAD) = 2304

/* local write b */
_ds_store_b128 v[vgprLocalWriteAddrB], v[vgprG2LB+0:vgprG2LB+0+3] offset:0 // lwoB_0_0_0_0 = (0*LSCB) + (0*LSPB)(*MT1J+PAD) = 0
_ds_store_b128 v[vgprLocalWriteAddrB], v[vgprG2LB+4:vgprG2LB+4+3] offset:256 // lwoB_1_0_0_0 = (1*LSCB) + (0*LSPB)(*MT1J+PAD) = 256
_ds_store_b128 v[vgprLocalWriteAddrB], v[vgprG2LB+8:vgprG2LB+8+3] offset:2112 // lwoB_0_0_1_0 = (0*LSCB) + (1*LSPB)(*MT1J+PAD) = 2112
_ds_store_b128 v[vgprLocalWriteAddrB], v[vgprG2LB+12:vgprG2LB+12+3] offset:2368 // lwoB_1_0_1_0 = (1*LSCB) + (1*LSPB)(*MT1J+PAD) = 2368


/* local write swap a */


	;; [unrolled: 1-line block ×3, first 2 shown]
/* local write swap b */


	;; [unrolled: 1-line block ×4, first 2 shown]
s_cmp_eq_u32 s[sgprLoopCounterL] 0x1               // PGR=2 but only 1 loop
s_cbranch_scc1 label_0012                          // PGR=2 but only 1 loop


_buffer_load_b128 v[vgprG2LA+0:vgprG2LA+0+3], v[vgprGlobalReadOffsetA+0], s[sgprSrdA:sgprSrdA+3], 0, offen offset:0 // G -> Reg 0_0_0_0
_buffer_load_b128 v[vgprG2LA+4:vgprG2LA+4+3], v[vgprGlobalReadOffsetA+0], s[sgprSrdA:sgprSrdA+3], s[sgprScalarGlobalReadOffsetA+0], offen offset:0 // G -> Reg 1_0_0_0
_buffer_load_b128 v[vgprG2LA+8:vgprG2LA+8+3], v[vgprGlobalReadOffsetA+0], s[sgprSrdA:sgprSrdA+3], s[sgprScalarGlobalReadOffsetA+1], offen offset:0 // G -> Reg 0_0_1_0
_buffer_load_b128 v[vgprG2LA+12:vgprG2LA+12+3], v[vgprGlobalReadOffsetA+0], s[sgprSrdA:sgprSrdA+3], s[sgprScalarGlobalReadOffsetA+2], offen offset:0 // G -> Reg 1_0_1_0


_buffer_load_b128 v[vgprG2LB+0:vgprG2LB+0+3], v[vgprGlobalReadOffsetB+0], s[sgprSrdB:sgprSrdB+3], 0, offen offset:0 // G -> Reg 0_0_0_0
_buffer_load_b128 v[vgprG2LB+4:vgprG2LB+4+3], v[vgprGlobalReadOffsetB+0], s[sgprSrdB:sgprSrdB+3], s[sgprScalarGlobalReadOffsetB+0], offen offset:0 // G -> Reg 1_0_0_0
_buffer_load_b128 v[vgprG2LB+8:vgprG2LB+8+3], v[vgprGlobalReadOffsetB+0], s[sgprSrdB:sgprSrdB+3], s[sgprScalarGlobalReadOffsetB+1], offen offset:0 // G -> Reg 0_0_1_0
_buffer_load_b128 v[vgprG2LB+12:vgprG2LB+12+3], v[vgprGlobalReadOffsetB+0], s[sgprSrdB:sgprSrdB+3], s[sgprScalarGlobalReadOffsetB+2], offen offset:0 // G -> Reg 1_0_1_0

label_0012:                                        // 

s_waitcnt lgkmcnt(0)                               // lgkmcnt=0 vmcnt=-10prefetch wait for local write

// Skip force waitcnt0
s_barrier //


/* local read prefetch a */

_ds_load_b32 v[vgprValuA_X0_I0_D0+0], v[vgprLocalReadAddrA] offset:0 // L -> Reg lro=0 swapByteOffset=0 ti=64 vIdx=0 rIdx=0 oIdx=0 buffer=0 iui=0
_ds_load_b32 v[vgprValuA_X0_I0_D1+0], v[vgprLocalReadAddrA] offset:512 // L -> Reg lro=0 swapByteOffset=0 ti=64 vIdx=0 rIdx=1 oIdx=0 buffer=0 iui=0
_ds_load_b32 v[vgprValuA_X0_I0_D2+0], v[vgprLocalReadAddrA] offset:1024 // L -> Reg lro=0 swapByteOffset=0 ti=64 vIdx=0 rIdx=2 oIdx=0 buffer=0 iui=0
_ds_load_b32 v[vgprValuA_X0_I0_D3+0], v[vgprLocalReadAddrA] offset:1536 // L -> Reg lro=0 swapByteOffset=0 ti=64 vIdx=0 rIdx=3 oIdx=0 buffer=0 iui=0
_ds_load_b32 v[vgprValuA_X0_I0_D0+1], v[vgprLocalReadAddrA] offset:128 // L -> Reg lro=0 swapByteOffset=0 ti=64 vIdx=1 rIdx=0 oIdx=0 buffer=0 iui=0
_ds_load_b32 v[vgprValuA_X0_I0_D1+1], v[vgprLocalReadAddrA] offset:640 // L -> Reg lro=0 swapByteOffset=0 ti=64 vIdx=1 rIdx=1 oIdx=0 buffer=0 iui=0
_ds_load_b32 v[vgprValuA_X0_I0_D2+1], v[vgprLocalReadAddrA] offset:1152 // L -> Reg lro=0 swapByteOffset=0 ti=64 vIdx=1 rIdx=2 oIdx=0 buffer=0 iui=0
_ds_load_b32 v[vgprValuA_X0_I0_D3+1], v[vgprLocalReadAddrA] offset:1664 // L -> Reg lro=0 swapByteOffset=0 ti=64 vIdx=1 rIdx=3 oIdx=0 buffer=0 iui=0
	;; [unrolled: 4-line block ×4, first 2 shown]


/* local read prefetch b */

_ds_load_u16 v[vgprValuB_X0_I0+0], v[vgprLocalReadAddrB] offset:0 // L -> Reg lro=0 swapByteOffset=0 ti=32 vIdx=0 rIdx=0 oIdx=0 buffer=0 iui=0
_ds_load_u16_d16_hi v[vgprValuB_X0_I0_D1+0], v[vgprLocalReadAddrB] offset:512 // L -> Reg lro=0 swapByteOffset=0 ti=32 vIdx=0 rIdx=1 oIdx=0 buffer=0 iui=0
_ds_load_u16 v[vgprValuB_X0_I0+1], v[vgprLocalReadAddrB] offset:1024 // L -> Reg lro=0 swapByteOffset=0 ti=32 vIdx=0 rIdx=2 oIdx=0 buffer=0 iui=0
_ds_load_u16_d16_hi v[vgprValuB_X0_I0_D1+1], v[vgprLocalReadAddrB] offset:1536 // L -> Reg lro=0 swapByteOffset=0 ti=32 vIdx=0 rIdx=3 oIdx=0 buffer=0 iui=0
	;; [unrolled: 2-line block ×16, first 2 shown]


/* local read inc a */

/* N/A, lro->4096 */
/* self.localReadDoCntA 1 self.localReadDoCntB 1 */


/* local read inc b */

/* N/A, lro->4096 */
/* self.localReadDoCntA 1 self.localReadDoCntB 1 */


	;; [unrolled: 1-line block ×3, first 2 shown]
/******************************************/
/* Unrolled Loop(s) - Begin               */
/******************************************/

openLoopL_13:
s_cmp_le_u32 s[sgprLoopCounterL], 0x2              // LoopCounterL < EndCounter
s_cbranch_scc1 LoopEndL_evenexit_4                 // do not enter LoopL
LoopBeginL_1:


/******************************************/
/* Unrolled Loop 1/2 - Begin              */
/******************************************/

label_0014: // LoopCopy1 


/* Begin Each Unroll: Check VGPR.checkin for INT8 LW */


	;; [unrolled: 1-line block ×3, first 2 shown]
/* iter 0 (reset local read pointers iteration)  (swap local read pointers iteration)  */

/*  grEndMfmaIndex:12, lwStartMfmaIndex:52, lwEndMfmaIndex:75  */
/*  numMfmaForLR:50, barrierMfmaIndex:77, LocalWritePerMfma:0.310 */
/*  mfmaIndex:0  */
s_waitcnt lgkmcnt(0)                               // lgkmcnt=0 vmcnt=-1wait for prior local read local write old=0, new=0 newLW=0 newLR=0
/* pack scheduling: packAIdx:2, packBIdx:2 */
v_perm_b32 v[vgprValuA_X0_I0+0], v[vgprValuA_X0_I0_D1+0], v[vgprValuA_X0_I0_D0+0], s[sgprPackKForV0] // select K=01 for vector=0
v_perm_b32 v[vgprValuA_X0_I0+1], v[vgprValuA_X0_I0_D3+0], v[vgprValuA_X0_I0_D2+0], s[sgprPackKForV0] // select K=23 for vector=0
v_or_b32 v[vgprValuB_X0_I0+0], v[vgprValuB_X0_I0+0], v[vgprValuB_X0_I0_D1+0] // pack two half Vgpr to one Vgpr
v_or_b32 v[vgprValuB_X0_I0+1], v[vgprValuB_X0_I0+1], v[vgprValuB_X0_I0_D1+1] // pack two half Vgpr to one Vgpr
v_perm_b32 v[vgprValuA_X0_I0+2], v[vgprValuA_X0_I0_D1+0], v[vgprValuA_X0_I0_D0+0], s[sgprPackKForV1] // select K=01 for vector=1
v_perm_b32 v[vgprValuA_X0_I0+3], v[vgprValuA_X0_I0_D3+0], v[vgprValuA_X0_I0_D2+0], s[sgprPackKForV1] // select K=23 for vector=1
v_mfma_f32_16x16x16_bf16 a[0+0:3+0], v[vgprValuB_X0_I0+0+0+0:vgprValuB_X0_I0+0+0+0+1], v[vgprValuA_X0_I0+0+0+0:vgprValuA_X0_I0+0+0+0+1], a[0:3]
/*  mfmaIndex:1  */
_ds_load_b32 v[vgprValuA_X1_I0_D0+0], v[vgprLocalReadAddrA] offset:8192 // L -> Reg lro=4096 swapByteOffset=0 ti=64 vIdx=0 rIdx=0 oIdx=0 buffer=1 iui=0

/* global read inc A loopL */
s_add_u32 s[sgprSrdA+0], s[sgprSrdA+0], s[sgprGlobalReadIncsA+0] // gra SRD += inc(lower)
/* pack scheduling: packAIdx:4, packBIdx:2 */
v_perm_b32 v[vgprValuA_X0_I0+4], v[vgprValuA_X0_I0_D1+1], v[vgprValuA_X0_I0_D0+1], s[sgprPackKForV0] // select K=01 for vector=0
v_perm_b32 v[vgprValuA_X0_I0+5], v[vgprValuA_X0_I0_D3+1], v[vgprValuA_X0_I0_D2+1], s[sgprPackKForV0] // select K=23 for vector=0
v_mfma_f32_16x16x16_bf16 a[4+0:7+0], v[vgprValuB_X0_I0+0+0+0:vgprValuB_X0_I0+0+0+0+1], v[vgprValuA_X0_I0+2+0+0:vgprValuA_X0_I0+2+0+0+1], a[4:7]
/*  mfmaIndex:2  */
_ds_load_b32 v[vgprValuA_X1_I0_D1+0], v[vgprLocalReadAddrA] offset:8704 // L -> Reg lro=4096 swapByteOffset=0 ti=64 vIdx=0 rIdx=1 oIdx=0 buffer=1 iui=0
s_addc_u32  s[sgprSrdA+1], s[sgprSrdA+1], 0        // gra SRD += inc(upper)
/* pack scheduling: packAIdx:6, packBIdx:2 */
v_perm_b32 v[vgprValuA_X0_I0+6], v[vgprValuA_X0_I0_D1+1], v[vgprValuA_X0_I0_D0+1], s[sgprPackKForV1] // select K=01 for vector=1
v_perm_b32 v[vgprValuA_X0_I0+7], v[vgprValuA_X0_I0_D3+1], v[vgprValuA_X0_I0_D2+1], s[sgprPackKForV1] // select K=23 for vector=1
v_mfma_f32_16x16x16_bf16 a[8+0:11+0], v[vgprValuB_X0_I0+0+0+0:vgprValuB_X0_I0+0+0+0+1], v[vgprValuA_X0_I0+4+0+0:vgprValuA_X0_I0+4+0+0+1], a[8:11]
/*  mfmaIndex:3  */
_ds_load_b32 v[vgprValuA_X1_I0_D2+0], v[vgprLocalReadAddrA] offset:9216 // L -> Reg lro=4096 swapByteOffset=0 ti=64 vIdx=0 rIdx=2 oIdx=0 buffer=1 iui=0
s_sub_u32 s[sgprShadowLimitA+0], s[sgprShadowLimitA+0], s[sgprGlobalReadIncsA+0] // limit -= inc)
/* pack scheduling: packAIdx:8, packBIdx:2 */
v_perm_b32 v[vgprValuA_X0_I0+8], v[vgprValuA_X0_I0_D1+2], v[vgprValuA_X0_I0_D0+2], s[sgprPackKForV0] // select K=01 for vector=0
v_perm_b32 v[vgprValuA_X0_I0+9], v[vgprValuA_X0_I0_D3+2], v[vgprValuA_X0_I0_D2+2], s[sgprPackKForV0] // select K=23 for vector=0
v_mfma_f32_16x16x16_bf16 a[12+0:15+0], v[vgprValuB_X0_I0+0+0+0:vgprValuB_X0_I0+0+0+0+1], v[vgprValuA_X0_I0+6+0+0:vgprValuA_X0_I0+6+0+0+1], a[12:15]
/*  mfmaIndex:4  */
_ds_load_b32 v[vgprValuA_X1_I0_D3+0], v[vgprLocalReadAddrA] offset:9728 // L -> Reg lro=4096 swapByteOffset=0 ti=64 vIdx=0 rIdx=3 oIdx=0 buffer=1 iui=0
s_subb_u32 s[sgprShadowLimitA+1], s[sgprShadowLimitA+1], 0 // limit -= inc)
/* pack scheduling: packAIdx:10, packBIdx:2 */
v_perm_b32 v[vgprValuA_X0_I0+10], v[vgprValuA_X0_I0_D1+2], v[vgprValuA_X0_I0_D0+2], s[sgprPackKForV1] // select K=01 for vector=1
v_perm_b32 v[vgprValuA_X0_I0+11], v[vgprValuA_X0_I0_D3+2], v[vgprValuA_X0_I0_D2+2], s[sgprPackKForV1] // select K=23 for vector=1
v_mfma_f32_16x16x16_bf16 a[16+0:19+0], v[vgprValuB_X0_I0+0+0+0:vgprValuB_X0_I0+0+0+0+1], v[vgprValuA_X0_I0+8+0+0:vgprValuA_X0_I0+8+0+0+1], a[16:19]
/*  mfmaIndex:5  */
_ds_load_u16 v[vgprValuB_X1_I0+0], v[vgprLocalReadAddrB] offset:8448 // L -> Reg lro=4096 swapByteOffset=0 ti=32 vIdx=0 rIdx=0 oIdx=0 buffer=1 iui=0
s_cmp_eq_u32 s[sgprShadowLimitA+1], 0              // are we within 2^32?
/* pack scheduling: packAIdx:12, packBIdx:2 */
v_perm_b32 v[vgprValuA_X0_I0+12], v[vgprValuA_X0_I0_D1+3], v[vgprValuA_X0_I0_D0+3], s[sgprPackKForV0] // select K=01 for vector=0
v_perm_b32 v[vgprValuA_X0_I0+13], v[vgprValuA_X0_I0_D3+3], v[vgprValuA_X0_I0_D2+3], s[sgprPackKForV0] // select K=23 for vector=0
v_mfma_f32_16x16x16_bf16 a[20+0:23+0], v[vgprValuB_X0_I0+0+0+0:vgprValuB_X0_I0+0+0+0+1], v[vgprValuA_X0_I0+10+0+0:vgprValuA_X0_I0+10+0+0+1], a[20:23]
/*  mfmaIndex:6  */
_ds_load_u16_d16_hi v[vgprValuB_X1_I0_D1+0], v[vgprLocalReadAddrB] offset:8960 // L -> Reg lro=4096 swapByteOffset=0 ti=32 vIdx=0 rIdx=1 oIdx=0 buffer=1 iui=0
s_cmov_b32 s[sgprSrdA+2], s[sgprShadowLimitA+0]    // Move shadow to real if we are within 2^32
/* pack scheduling: packAIdx:14, packBIdx:2 */
v_perm_b32 v[vgprValuA_X0_I0+14], v[vgprValuA_X0_I0_D1+3], v[vgprValuA_X0_I0_D0+3], s[sgprPackKForV1] // select K=01 for vector=1
v_perm_b32 v[vgprValuA_X0_I0+15], v[vgprValuA_X0_I0_D3+3], v[vgprValuA_X0_I0_D2+3], s[sgprPackKForV1] // select K=23 for vector=1
v_mfma_f32_16x16x16_bf16 a[24+0:27+0], v[vgprValuB_X0_I0+0+0+0:vgprValuB_X0_I0+0+0+0+1], v[vgprValuA_X0_I0+12+0+0:vgprValuA_X0_I0+12+0+0+1], a[24:27]
/*  mfmaIndex:7  */
_ds_load_u16 v[vgprValuB_X1_I0+1], v[vgprLocalReadAddrB] offset:9472 // L -> Reg lro=4096 swapByteOffset=0 ti=32 vIdx=0 rIdx=2 oIdx=0 buffer=1 iui=0

/* global read inc B loopL */
s_add_u32 s[sgprSrdB+0], s[sgprSrdB+0], s[sgprGlobalReadIncsB+0] // gra SRD += inc(lower)
/* pack scheduling: packAIdx:16, packBIdx:2 */
v_or_b32 v[vgprValuB_X0_I0+2], v[vgprValuB_X0_I0+2], v[vgprValuB_X0_I0_D1+2] // pack two half Vgpr to one Vgpr
v_or_b32 v[vgprValuB_X0_I0+3], v[vgprValuB_X0_I0+3], v[vgprValuB_X0_I0_D1+3] // pack two half Vgpr to one Vgpr
v_mfma_f32_16x16x16_bf16 a[28+0:31+0], v[vgprValuB_X0_I0+0+0+0:vgprValuB_X0_I0+0+0+0+1], v[vgprValuA_X0_I0+14+0+0:vgprValuA_X0_I0+14+0+0+1], a[28:31]
/*  mfmaIndex:8  */
_ds_load_u16_d16_hi v[vgprValuB_X1_I0_D1+1], v[vgprLocalReadAddrB] offset:9984 // L -> Reg lro=4096 swapByteOffset=0 ti=32 vIdx=0 rIdx=3 oIdx=0 buffer=1 iui=0
s_addc_u32  s[sgprSrdB+1], s[sgprSrdB+1], 0        // gra SRD += inc(upper)
/* pack scheduling: packAIdx:16, packBIdx:4 */
v_or_b32 v[vgprValuB_X0_I0+4], v[vgprValuB_X0_I0+4], v[vgprValuB_X0_I0_D1+4] // pack two half Vgpr to one Vgpr
v_or_b32 v[vgprValuB_X0_I0+5], v[vgprValuB_X0_I0+5], v[vgprValuB_X0_I0_D1+5] // pack two half Vgpr to one Vgpr
v_mfma_f32_16x16x16_bf16 a[60+0:63+0], v[vgprValuB_X0_I0+2+0+0:vgprValuB_X0_I0+2+0+0+1], v[vgprValuA_X0_I0+14+0+0:vgprValuA_X0_I0+14+0+0+1], a[60:63]
/*  mfmaIndex:9  */
_ds_load_b32 v[vgprValuA_X1_I0_D0+1], v[vgprLocalReadAddrA] offset:8320 // L -> Reg lro=4096 swapByteOffset=0 ti=64 vIdx=1 rIdx=0 oIdx=0 buffer=1 iui=0
s_sub_u32 s[sgprShadowLimitB+0], s[sgprShadowLimitB+0], s[sgprGlobalReadIncsB+0] // limit -= inc)
/* pack scheduling: packAIdx:16, packBIdx:4 */
v_or_b32 v[vgprValuB_X0_I0+6], v[vgprValuB_X0_I0+6], v[vgprValuB_X0_I0_D1+6] // pack two half Vgpr to one Vgpr
v_or_b32 v[vgprValuB_X0_I0+7], v[vgprValuB_X0_I0+7], v[vgprValuB_X0_I0_D1+7] // pack two half Vgpr to one Vgpr
v_mfma_f32_16x16x16_bf16 a[56+0:59+0], v[vgprValuB_X0_I0+2+0+0:vgprValuB_X0_I0+2+0+0+1], v[vgprValuA_X0_I0+12+0+0:vgprValuA_X0_I0+12+0+0+1], a[56:59]
/*  mfmaIndex:10  */
_ds_load_b32 v[vgprValuA_X1_I0_D1+1], v[vgprLocalReadAddrA] offset:8832 // L -> Reg lro=4096 swapByteOffset=0 ti=64 vIdx=1 rIdx=1 oIdx=0 buffer=1 iui=0
s_subb_u32 s[sgprShadowLimitB+1], s[sgprShadowLimitB+1], 0 // limit -= inc)
/* pack scheduling: packAIdx:16, packBIdx:4 */
v_or_b32 v[vgprValuB_X0_I0+8], v[vgprValuB_X0_I0+8], v[vgprValuB_X0_I0_D1+8] // pack two half Vgpr to one Vgpr
v_or_b32 v[vgprValuB_X0_I0+9], v[vgprValuB_X0_I0+9], v[vgprValuB_X0_I0_D1+9] // pack two half Vgpr to one Vgpr
v_mfma_f32_16x16x16_bf16 a[52+0:55+0], v[vgprValuB_X0_I0+2+0+0:vgprValuB_X0_I0+2+0+0+1], v[vgprValuA_X0_I0+10+0+0:vgprValuA_X0_I0+10+0+0+1], a[52:55]
/*  mfmaIndex:11  */
_ds_load_b32 v[vgprValuA_X1_I0_D2+1], v[vgprLocalReadAddrA] offset:9344 // L -> Reg lro=4096 swapByteOffset=0 ti=64 vIdx=1 rIdx=2 oIdx=0 buffer=1 iui=0
s_cmp_eq_u32 s[sgprShadowLimitB+1], 0              // are we within 2^32?
/* pack scheduling: packAIdx:16, packBIdx:4 */
v_or_b32 v[vgprValuB_X0_I0+10], v[vgprValuB_X0_I0+10], v[vgprValuB_X0_I0_D1+10] // pack two half Vgpr to one Vgpr
v_or_b32 v[vgprValuB_X0_I0+11], v[vgprValuB_X0_I0+11], v[vgprValuB_X0_I0_D1+11] // pack two half Vgpr to one Vgpr
v_mfma_f32_16x16x16_bf16 a[48+0:51+0], v[vgprValuB_X0_I0+2+0+0:vgprValuB_X0_I0+2+0+0+1], v[vgprValuA_X0_I0+8+0+0:vgprValuA_X0_I0+8+0+0+1], a[48:51]
/*  mfmaIndex:12  */
_ds_load_b32 v[vgprValuA_X1_I0_D3+1], v[vgprLocalReadAddrA] offset:9856 // L -> Reg lro=4096 swapByteOffset=0 ti=64 vIdx=1 rIdx=3 oIdx=0 buffer=1 iui=0
s_cmov_b32 s[sgprSrdB+2], s[sgprShadowLimitB+0]    // Move shadow to real if we are within 2^32
/* pack scheduling: packAIdx:16, packBIdx:4 */
v_or_b32 v[vgprValuB_X0_I0+12], v[vgprValuB_X0_I0+12], v[vgprValuB_X0_I0_D1+12] // pack two half Vgpr to one Vgpr
v_or_b32 v[vgprValuB_X0_I0+13], v[vgprValuB_X0_I0+13], v[vgprValuB_X0_I0_D1+13] // pack two half Vgpr to one Vgpr
v_mfma_f32_16x16x16_bf16 a[44+0:47+0], v[vgprValuB_X0_I0+2+0+0:vgprValuB_X0_I0+2+0+0+1], v[vgprValuA_X0_I0+6+0+0:vgprValuA_X0_I0+6+0+0+1], a[44:47]
/*  mfmaIndex:13  */
_ds_load_b32 v[vgprValuA_X1_I0_D0+2], v[vgprLocalReadAddrA] offset:8448 // L -> Reg lro=4096 swapByteOffset=0 ti=64 vIdx=2 rIdx=0 oIdx=0 buffer=1 iui=0
/* pack scheduling: packAIdx:16, packBIdx:4 */
v_or_b32 v[vgprValuB_X0_I0+14], v[vgprValuB_X0_I0+14], v[vgprValuB_X0_I0_D1+14] // pack two half Vgpr to one Vgpr
v_or_b32 v[vgprValuB_X0_I0+15], v[vgprValuB_X0_I0+15], v[vgprValuB_X0_I0_D1+15] // pack two half Vgpr to one Vgpr
v_mfma_f32_16x16x16_bf16 a[40+0:43+0], v[vgprValuB_X0_I0+2+0+0:vgprValuB_X0_I0+2+0+0+1], v[vgprValuA_X0_I0+4+0+0:vgprValuA_X0_I0+4+0+0+1], a[40:43]
/*  mfmaIndex:14  */
_ds_load_b32 v[vgprValuA_X1_I0_D1+2], v[vgprLocalReadAddrA] offset:8960 // L -> Reg lro=4096 swapByteOffset=0 ti=64 vIdx=2 rIdx=1 oIdx=0 buffer=1 iui=0
v_mfma_f32_16x16x16_bf16 a[36+0:39+0], v[vgprValuB_X0_I0+2+0+0:vgprValuB_X0_I0+2+0+0+1], v[vgprValuA_X0_I0+2+0+0:vgprValuA_X0_I0+2+0+0+1], a[36:39]
/*  mfmaIndex:15  */
_ds_load_b32 v[vgprValuA_X1_I0_D2+2], v[vgprLocalReadAddrA] offset:9472 // L -> Reg lro=4096 swapByteOffset=0 ti=64 vIdx=2 rIdx=2 oIdx=0 buffer=1 iui=0
v_mfma_f32_16x16x16_bf16 a[32+0:35+0], v[vgprValuB_X0_I0+2+0+0:vgprValuB_X0_I0+2+0+0+1], v[vgprValuA_X0_I0+0+0+0:vgprValuA_X0_I0+0+0+0+1], a[32:35]
/*  mfmaIndex:16  */
_ds_load_b32 v[vgprValuA_X1_I0_D3+2], v[vgprLocalReadAddrA] offset:9984 // L -> Reg lro=4096 swapByteOffset=0 ti=64 vIdx=2 rIdx=3 oIdx=0 buffer=1 iui=0
v_mfma_f32_16x16x16_bf16 a[64+0:67+0], v[vgprValuB_X0_I0+4+0+0:vgprValuB_X0_I0+4+0+0+1], v[vgprValuA_X0_I0+0+0+0:vgprValuA_X0_I0+0+0+0+1], a[64:67]
/*  mfmaIndex:17  */
_ds_load_b32 v[vgprValuA_X1_I0_D0+3], v[vgprLocalReadAddrA] offset:8576 // L -> Reg lro=4096 swapByteOffset=0 ti=64 vIdx=3 rIdx=0 oIdx=0 buffer=1 iui=0
v_mfma_f32_16x16x16_bf16 a[68+0:71+0], v[vgprValuB_X0_I0+4+0+0:vgprValuB_X0_I0+4+0+0+1], v[vgprValuA_X0_I0+2+0+0:vgprValuA_X0_I0+2+0+0+1], a[68:71]
/*  mfmaIndex:18  */
_ds_load_b32 v[vgprValuA_X1_I0_D1+3], v[vgprLocalReadAddrA] offset:9088 // L -> Reg lro=4096 swapByteOffset=0 ti=64 vIdx=3 rIdx=1 oIdx=0 buffer=1 iui=0
v_mfma_f32_16x16x16_bf16 a[72+0:75+0], v[vgprValuB_X0_I0+4+0+0:vgprValuB_X0_I0+4+0+0+1], v[vgprValuA_X0_I0+4+0+0:vgprValuA_X0_I0+4+0+0+1], a[72:75]
/*  mfmaIndex:19  */
_ds_load_b32 v[vgprValuA_X1_I0_D2+3], v[vgprLocalReadAddrA] offset:9600 // L -> Reg lro=4096 swapByteOffset=0 ti=64 vIdx=3 rIdx=2 oIdx=0 buffer=1 iui=0
v_mfma_f32_16x16x16_bf16 a[76+0:79+0], v[vgprValuB_X0_I0+4+0+0:vgprValuB_X0_I0+4+0+0+1], v[vgprValuA_X0_I0+6+0+0:vgprValuA_X0_I0+6+0+0+1], a[76:79]
/*  mfmaIndex:20  */
_ds_load_b32 v[vgprValuA_X1_I0_D3+3], v[vgprLocalReadAddrA] offset:10112 // L -> Reg lro=4096 swapByteOffset=0 ti=64 vIdx=3 rIdx=3 oIdx=0 buffer=1 iui=0
v_mfma_f32_16x16x16_bf16 a[80+0:83+0], v[vgprValuB_X0_I0+4+0+0:vgprValuB_X0_I0+4+0+0+1], v[vgprValuA_X0_I0+8+0+0:vgprValuA_X0_I0+8+0+0+1], a[80:83]
/*  mfmaIndex:21  */
_ds_load_u16 v[vgprValuB_X1_I0+2], v[vgprLocalReadAddrB] offset:8512 // L -> Reg lro=4096 swapByteOffset=0 ti=32 vIdx=1 rIdx=0 oIdx=0 buffer=1 iui=0
v_mfma_f32_16x16x16_bf16 a[84+0:87+0], v[vgprValuB_X0_I0+4+0+0:vgprValuB_X0_I0+4+0+0+1], v[vgprValuA_X0_I0+10+0+0:vgprValuA_X0_I0+10+0+0+1], a[84:87]
/*  mfmaIndex:22  */
_ds_load_u16_d16_hi v[vgprValuB_X1_I0_D1+2], v[vgprLocalReadAddrB] offset:9024 // L -> Reg lro=4096 swapByteOffset=0 ti=32 vIdx=1 rIdx=1 oIdx=0 buffer=1 iui=0
v_mfma_f32_16x16x16_bf16 a[88+0:91+0], v[vgprValuB_X0_I0+4+0+0:vgprValuB_X0_I0+4+0+0+1], v[vgprValuA_X0_I0+12+0+0:vgprValuA_X0_I0+12+0+0+1], a[88:91]
/*  mfmaIndex:23  */
_ds_load_u16 v[vgprValuB_X1_I0+3], v[vgprLocalReadAddrB] offset:9536 // L -> Reg lro=4096 swapByteOffset=0 ti=32 vIdx=1 rIdx=2 oIdx=0 buffer=1 iui=0
v_mfma_f32_16x16x16_bf16 a[92+0:95+0], v[vgprValuB_X0_I0+4+0+0:vgprValuB_X0_I0+4+0+0+1], v[vgprValuA_X0_I0+14+0+0:vgprValuA_X0_I0+14+0+0+1], a[92:95]
/*  mfmaIndex:24  */
_ds_load_u16_d16_hi v[vgprValuB_X1_I0_D1+3], v[vgprLocalReadAddrB] offset:10048 // L -> Reg lro=4096 swapByteOffset=0 ti=32 vIdx=1 rIdx=3 oIdx=0 buffer=1 iui=0
	;; [unrolled: 6-line block ×14, first 2 shown]
v_mfma_f32_16x16x16_bf16 a[192+0:195+0], v[vgprValuB_X0_I0+12+0+0:vgprValuB_X0_I0+12+0+0+1], v[vgprValuA_X0_I0+0+0+0:vgprValuA_X0_I0+0+0+0+1], a[192:195]
/*  mfmaIndex:49  */
/* localReadsVacancy: latencyLeft 2 */
v_mfma_f32_16x16x16_bf16 a[196+0:199+0], v[vgprValuB_X0_I0+12+0+0:vgprValuB_X0_I0+12+0+0+1], v[vgprValuA_X0_I0+2+0+0:vgprValuA_X0_I0+2+0+0+1], a[196:199]
/*  mfmaIndex:50  */
/* localReadsVacancy: latencyLeft 2 */
	;; [unrolled: 3-line block ×3, first 2 shown]
/* 1 LDS buffer: read-sync-write */
s_waitcnt lgkmcnt(0)                               // 
s_barrier                                          // 
v_mfma_f32_16x16x16_bf16 a[204+0:207+0], v[vgprValuB_X0_I0+12+0+0:vgprValuB_X0_I0+12+0+0+1], v[vgprValuA_X0_I0+6+0+0:vgprValuA_X0_I0+6+0+0+1], a[204:207]
/*  mfmaIndex:52  */
s_setprio 3                                        // store optimization
/* sched write - iter 0 writesPerItem=1 */
s_waitcnt vmcnt(0)                                 // lgkmcnt=-1 vmcnt=0wait for global read before writing to local
_ds_store_b128 v[vgprLocalWriteAddrA], v[vgprG2LA+0:vgprG2LA+0+3] offset:0 // lwoA_0_0_0_0 = (0*LSCA) + (0*LSPA)(*MT0I+PAD) = 0
v_mfma_f32_16x16x16_bf16 a[208+0:211+0], v[vgprValuB_X0_I0+12+0+0:vgprValuB_X0_I0+12+0+0+1], v[vgprValuA_X0_I0+8+0+0:vgprValuA_X0_I0+8+0+0+1], a[208:211]
/*  mfmaIndex:53  */
_buffer_load_b128 v[vgprG2LA+0:vgprG2LA+0+3], v[vgprGlobalReadOffsetA+0], s[sgprSrdA:sgprSrdA+3], 0, offen offset:0 // G -> Reg 0_0_0_0
v_mfma_f32_16x16x16_bf16 a[212+0:215+0], v[vgprValuB_X0_I0+12+0+0:vgprValuB_X0_I0+12+0+0+1], v[vgprValuA_X0_I0+10+0+0:vgprValuA_X0_I0+10+0+0+1], a[212:215]
/*  mfmaIndex:54  */
v_mfma_f32_16x16x16_bf16 a[216+0:219+0], v[vgprValuB_X0_I0+12+0+0:vgprValuB_X0_I0+12+0+0+1], v[vgprValuA_X0_I0+12+0+0:vgprValuA_X0_I0+12+0+0+1], a[216:219]
/*  mfmaIndex:55  */
/* sched write - iter 0 writesPerItem=1 */
s_waitcnt vmcnt(0)                                 // lgkmcnt=-1 vmcnt=0wait for global read before writing to local
_ds_store_b128 v[vgprLocalWriteAddrA], v[vgprG2LA+4:vgprG2LA+4+3] offset:256 // lwoA_1_0_0_0 = (1*LSCA) + (0*LSPA)(*MT0I+PAD) = 256
v_mfma_f32_16x16x16_bf16 a[220+0:223+0], v[vgprValuB_X0_I0+12+0+0:vgprValuB_X0_I0+12+0+0+1], v[vgprValuA_X0_I0+14+0+0:vgprValuA_X0_I0+14+0+0+1], a[220:223]
/*  mfmaIndex:56  */
_buffer_load_b128 v[vgprG2LA+4:vgprG2LA+4+3], v[vgprGlobalReadOffsetA+0], s[sgprSrdA:sgprSrdA+3], s[sgprScalarGlobalReadOffsetA+0], offen offset:0 // G -> Reg 1_0_0_0
v_mfma_f32_16x16x16_bf16 a[252+0:255+0], v[vgprValuB_X0_I0+14+0+0:vgprValuB_X0_I0+14+0+0+1], v[vgprValuA_X0_I0+14+0+0:vgprValuA_X0_I0+14+0+0+1], a[252:255]
/*  mfmaIndex:57  */
v_mfma_f32_16x16x16_bf16 a[248+0:251+0], v[vgprValuB_X0_I0+14+0+0:vgprValuB_X0_I0+14+0+0+1], v[vgprValuA_X0_I0+12+0+0:vgprValuA_X0_I0+12+0+0+1], a[248:251]
/*  mfmaIndex:58  */
/* sched write - iter 0 writesPerItem=1 */
s_waitcnt vmcnt(0)                                 // lgkmcnt=-1 vmcnt=0wait for global read before writing to local
_ds_store_b128 v[vgprLocalWriteAddrA], v[vgprG2LA+8:vgprG2LA+8+3] offset:2048 // lwoA_0_0_1_0 = (0*LSCA) + (1*LSPA)(*MT0I+PAD) = 2048
v_mfma_f32_16x16x16_bf16 a[244+0:247+0], v[vgprValuB_X0_I0+14+0+0:vgprValuB_X0_I0+14+0+0+1], v[vgprValuA_X0_I0+10+0+0:vgprValuA_X0_I0+10+0+0+1], a[244:247]
/*  mfmaIndex:59  */
_buffer_load_b128 v[vgprG2LA+8:vgprG2LA+8+3], v[vgprGlobalReadOffsetA+0], s[sgprSrdA:sgprSrdA+3], s[sgprScalarGlobalReadOffsetA+1], offen offset:0 // G -> Reg 0_0_1_0
v_mfma_f32_16x16x16_bf16 a[240+0:243+0], v[vgprValuB_X0_I0+14+0+0:vgprValuB_X0_I0+14+0+0+1], v[vgprValuA_X0_I0+8+0+0:vgprValuA_X0_I0+8+0+0+1], a[240:243]
/*  mfmaIndex:60  */
v_mfma_f32_16x16x16_bf16 a[236+0:239+0], v[vgprValuB_X0_I0+14+0+0:vgprValuB_X0_I0+14+0+0+1], v[vgprValuA_X0_I0+6+0+0:vgprValuA_X0_I0+6+0+0+1], a[236:239]
/*  mfmaIndex:61  */
/* sched write - iter 0 writesPerItem=1 */
s_waitcnt vmcnt(0)                                 // lgkmcnt=-1 vmcnt=0wait for global read before writing to local
_ds_store_b128 v[vgprLocalWriteAddrA], v[vgprG2LA+12:vgprG2LA+12+3] offset:2304 // lwoA_1_0_1_0 = (1*LSCA) + (1*LSPA)(*MT0I+PAD) = 2304
v_mfma_f32_16x16x16_bf16 a[232+0:235+0], v[vgprValuB_X0_I0+14+0+0:vgprValuB_X0_I0+14+0+0+1], v[vgprValuA_X0_I0+4+0+0:vgprValuA_X0_I0+4+0+0+1], a[232:235]
/*  mfmaIndex:62  */
_buffer_load_b128 v[vgprG2LA+12:vgprG2LA+12+3], v[vgprGlobalReadOffsetA+0], s[sgprSrdA:sgprSrdA+3], s[sgprScalarGlobalReadOffsetA+2], offen offset:0 // G -> Reg 1_0_1_0
v_mfma_f32_16x16x16_bf16 a[228+0:231+0], v[vgprValuB_X0_I0+14+0+0:vgprValuB_X0_I0+14+0+0+1], v[vgprValuA_X0_I0+2+0+0:vgprValuA_X0_I0+2+0+0+1], a[228:231]
/*  mfmaIndex:63  */

/* local read swap offsets a */

/* local read swap offsets b */

/* local read init pointers a */

/* localReadInitPointers */

/* local read init pointers b */

/* localReadInitPointers */
v_mfma_f32_16x16x16_bf16 a[224+0:227+0], v[vgprValuB_X0_I0+14+0+0:vgprValuB_X0_I0+14+0+0+1], v[vgprValuA_X0_I0+0+0+0:vgprValuA_X0_I0+0+0+0+1], a[224:227]
/* numPrefetchIter=0 */
/* dataAtIterA=-1 numReadsIterA=1 skipReadsIterA=1 readsPerIterA=16 */
/* dataAtIterB=-1 numReadsIterB=1 skipReadsIterB=1 readsPerIterB=32 */


/* iter 1 (swap and reset local write pointers iteration)  */

/*  grEndMfmaIndex:12, lwStartMfmaIndex:52, lwEndMfmaIndex:75  */
/*  numMfmaForLR:50, barrierMfmaIndex:77, LocalWritePerMfma:0.310 */
/*  mfmaIndex:64  */
/* sched write - iter 1 writesPerItem=1 */
s_waitcnt vmcnt(0)                                 // lgkmcnt=-1 vmcnt=0wait for global read before writing to local
_ds_store_b128 v[vgprLocalWriteAddrB], v[vgprG2LB+0:vgprG2LB+0+3] offset:0 // lwoB_0_0_0_0 = (0*LSCB) + (0*LSPB)(*MT1J+PAD) = 0
/* pack scheduling: packAIdx:2, packBIdx:2 */
v_perm_b32 v[vgprValuA_X1_I0+0], v[vgprValuA_X1_I0_D1+0], v[vgprValuA_X1_I0_D0+0], s[sgprPackKForV0] // select K=01 for vector=0
v_perm_b32 v[vgprValuA_X1_I0+1], v[vgprValuA_X1_I0_D3+0], v[vgprValuA_X1_I0_D2+0], s[sgprPackKForV0] // select K=23 for vector=0
v_or_b32 v[vgprValuB_X1_I0+0], v[vgprValuB_X1_I0+0], v[vgprValuB_X1_I0_D1+0] // pack two half Vgpr to one Vgpr
v_or_b32 v[vgprValuB_X1_I0+1], v[vgprValuB_X1_I0+1], v[vgprValuB_X1_I0_D1+1] // pack two half Vgpr to one Vgpr
v_perm_b32 v[vgprValuA_X1_I0+2], v[vgprValuA_X1_I0_D1+0], v[vgprValuA_X1_I0_D0+0], s[sgprPackKForV1] // select K=01 for vector=1
v_perm_b32 v[vgprValuA_X1_I0+3], v[vgprValuA_X1_I0_D3+0], v[vgprValuA_X1_I0_D2+0], s[sgprPackKForV1] // select K=23 for vector=1
v_mfma_f32_16x16x16_bf16 a[0+0:3+0], v[vgprValuB_X1_I0+0+0+0:vgprValuB_X1_I0+0+0+0+1], v[vgprValuA_X1_I0+0+0+0:vgprValuA_X1_I0+0+0+0+1], a[0:3]
/*  mfmaIndex:65  */
_buffer_load_b128 v[vgprG2LB+0:vgprG2LB+0+3], v[vgprGlobalReadOffsetB+0], s[sgprSrdB:sgprSrdB+3], 0, offen offset:0 // G -> Reg 0_0_0_0
/* pack scheduling: packAIdx:4, packBIdx:2 */
v_perm_b32 v[vgprValuA_X1_I0+4], v[vgprValuA_X1_I0_D1+1], v[vgprValuA_X1_I0_D0+1], s[sgprPackKForV0] // select K=01 for vector=0
v_perm_b32 v[vgprValuA_X1_I0+5], v[vgprValuA_X1_I0_D3+1], v[vgprValuA_X1_I0_D2+1], s[sgprPackKForV0] // select K=23 for vector=0
v_mfma_f32_16x16x16_bf16 a[4+0:7+0], v[vgprValuB_X1_I0+0+0+0:vgprValuB_X1_I0+0+0+0+1], v[vgprValuA_X1_I0+2+0+0:vgprValuA_X1_I0+2+0+0+1], a[4:7]
/*  mfmaIndex:66  */
/* pack scheduling: packAIdx:6, packBIdx:2 */
v_perm_b32 v[vgprValuA_X1_I0+6], v[vgprValuA_X1_I0_D1+1], v[vgprValuA_X1_I0_D0+1], s[sgprPackKForV1] // select K=01 for vector=1
v_perm_b32 v[vgprValuA_X1_I0+7], v[vgprValuA_X1_I0_D3+1], v[vgprValuA_X1_I0_D2+1], s[sgprPackKForV1] // select K=23 for vector=1
v_mfma_f32_16x16x16_bf16 a[8+0:11+0], v[vgprValuB_X1_I0+0+0+0:vgprValuB_X1_I0+0+0+0+1], v[vgprValuA_X1_I0+4+0+0:vgprValuA_X1_I0+4+0+0+1], a[8:11]
/*  mfmaIndex:67  */
/* pack scheduling: packAIdx:8, packBIdx:2 */
v_perm_b32 v[vgprValuA_X1_I0+8], v[vgprValuA_X1_I0_D1+2], v[vgprValuA_X1_I0_D0+2], s[sgprPackKForV0] // select K=01 for vector=0
v_perm_b32 v[vgprValuA_X1_I0+9], v[vgprValuA_X1_I0_D3+2], v[vgprValuA_X1_I0_D2+2], s[sgprPackKForV0] // select K=23 for vector=0
v_mfma_f32_16x16x16_bf16 a[12+0:15+0], v[vgprValuB_X1_I0+0+0+0:vgprValuB_X1_I0+0+0+0+1], v[vgprValuA_X1_I0+6+0+0:vgprValuA_X1_I0+6+0+0+1], a[12:15]
/*  mfmaIndex:68  */
/* sched write - iter 1 writesPerItem=1 */
s_waitcnt vmcnt(0)                                 // lgkmcnt=-1 vmcnt=0wait for global read before writing to local
_ds_store_b128 v[vgprLocalWriteAddrB], v[vgprG2LB+4:vgprG2LB+4+3] offset:256 // lwoB_1_0_0_0 = (1*LSCB) + (0*LSPB)(*MT1J+PAD) = 256
/* pack scheduling: packAIdx:10, packBIdx:2 */
v_perm_b32 v[vgprValuA_X1_I0+10], v[vgprValuA_X1_I0_D1+2], v[vgprValuA_X1_I0_D0+2], s[sgprPackKForV1] // select K=01 for vector=1
v_perm_b32 v[vgprValuA_X1_I0+11], v[vgprValuA_X1_I0_D3+2], v[vgprValuA_X1_I0_D2+2], s[sgprPackKForV1] // select K=23 for vector=1
v_mfma_f32_16x16x16_bf16 a[16+0:19+0], v[vgprValuB_X1_I0+0+0+0:vgprValuB_X1_I0+0+0+0+1], v[vgprValuA_X1_I0+8+0+0:vgprValuA_X1_I0+8+0+0+1], a[16:19]
/*  mfmaIndex:69  */
_buffer_load_b128 v[vgprG2LB+4:vgprG2LB+4+3], v[vgprGlobalReadOffsetB+0], s[sgprSrdB:sgprSrdB+3], s[sgprScalarGlobalReadOffsetB+0], offen offset:0 // G -> Reg 1_0_0_0
/* pack scheduling: packAIdx:12, packBIdx:2 */
v_perm_b32 v[vgprValuA_X1_I0+12], v[vgprValuA_X1_I0_D1+3], v[vgprValuA_X1_I0_D0+3], s[sgprPackKForV0] // select K=01 for vector=0
v_perm_b32 v[vgprValuA_X1_I0+13], v[vgprValuA_X1_I0_D3+3], v[vgprValuA_X1_I0_D2+3], s[sgprPackKForV0] // select K=23 for vector=0
v_mfma_f32_16x16x16_bf16 a[20+0:23+0], v[vgprValuB_X1_I0+0+0+0:vgprValuB_X1_I0+0+0+0+1], v[vgprValuA_X1_I0+10+0+0:vgprValuA_X1_I0+10+0+0+1], a[20:23]
/*  mfmaIndex:70  */
/* pack scheduling: packAIdx:14, packBIdx:2 */
v_perm_b32 v[vgprValuA_X1_I0+14], v[vgprValuA_X1_I0_D1+3], v[vgprValuA_X1_I0_D0+3], s[sgprPackKForV1] // select K=01 for vector=1
v_perm_b32 v[vgprValuA_X1_I0+15], v[vgprValuA_X1_I0_D3+3], v[vgprValuA_X1_I0_D2+3], s[sgprPackKForV1] // select K=23 for vector=1
v_mfma_f32_16x16x16_bf16 a[24+0:27+0], v[vgprValuB_X1_I0+0+0+0:vgprValuB_X1_I0+0+0+0+1], v[vgprValuA_X1_I0+12+0+0:vgprValuA_X1_I0+12+0+0+1], a[24:27]
/*  mfmaIndex:71  */
/* sched write - iter 1 writesPerItem=1 */
s_waitcnt vmcnt(0)                                 // lgkmcnt=-1 vmcnt=0wait for global read before writing to local
_ds_store_b128 v[vgprLocalWriteAddrB], v[vgprG2LB+8:vgprG2LB+8+3] offset:2112 // lwoB_0_0_1_0 = (0*LSCB) + (1*LSPB)(*MT1J+PAD) = 2112
/* pack scheduling: packAIdx:16, packBIdx:2 */
v_or_b32 v[vgprValuB_X1_I0+2], v[vgprValuB_X1_I0+2], v[vgprValuB_X1_I0_D1+2] // pack two half Vgpr to one Vgpr
v_or_b32 v[vgprValuB_X1_I0+3], v[vgprValuB_X1_I0+3], v[vgprValuB_X1_I0_D1+3] // pack two half Vgpr to one Vgpr
v_mfma_f32_16x16x16_bf16 a[28+0:31+0], v[vgprValuB_X1_I0+0+0+0:vgprValuB_X1_I0+0+0+0+1], v[vgprValuA_X1_I0+14+0+0:vgprValuA_X1_I0+14+0+0+1], a[28:31]
/*  mfmaIndex:72  */
_buffer_load_b128 v[vgprG2LB+8:vgprG2LB+8+3], v[vgprGlobalReadOffsetB+0], s[sgprSrdB:sgprSrdB+3], s[sgprScalarGlobalReadOffsetB+1], offen offset:0 // G -> Reg 0_0_1_0
/* pack scheduling: packAIdx:16, packBIdx:4 */
v_or_b32 v[vgprValuB_X1_I0+4], v[vgprValuB_X1_I0+4], v[vgprValuB_X1_I0_D1+4] // pack two half Vgpr to one Vgpr
v_or_b32 v[vgprValuB_X1_I0+5], v[vgprValuB_X1_I0+5], v[vgprValuB_X1_I0_D1+5] // pack two half Vgpr to one Vgpr
v_mfma_f32_16x16x16_bf16 a[60+0:63+0], v[vgprValuB_X1_I0+2+0+0:vgprValuB_X1_I0+2+0+0+1], v[vgprValuA_X1_I0+14+0+0:vgprValuA_X1_I0+14+0+0+1], a[60:63]
/*  mfmaIndex:73  */
/* pack scheduling: packAIdx:16, packBIdx:4 */
v_or_b32 v[vgprValuB_X1_I0+6], v[vgprValuB_X1_I0+6], v[vgprValuB_X1_I0_D1+6] // pack two half Vgpr to one Vgpr
v_or_b32 v[vgprValuB_X1_I0+7], v[vgprValuB_X1_I0+7], v[vgprValuB_X1_I0_D1+7] // pack two half Vgpr to one Vgpr
v_mfma_f32_16x16x16_bf16 a[56+0:59+0], v[vgprValuB_X1_I0+2+0+0:vgprValuB_X1_I0+2+0+0+1], v[vgprValuA_X1_I0+12+0+0:vgprValuA_X1_I0+12+0+0+1], a[56:59]
/*  mfmaIndex:74  */
/* sched write - iter 1 writesPerItem=1 */
s_waitcnt vmcnt(0)                                 // lgkmcnt=-1 vmcnt=0wait for global read before writing to local
_ds_store_b128 v[vgprLocalWriteAddrB], v[vgprG2LB+12:vgprG2LB+12+3] offset:2368 // lwoB_1_0_1_0 = (1*LSCB) + (1*LSPB)(*MT1J+PAD) = 2368
/* pack scheduling: packAIdx:16, packBIdx:4 */
v_or_b32 v[vgprValuB_X1_I0+8], v[vgprValuB_X1_I0+8], v[vgprValuB_X1_I0_D1+8] // pack two half Vgpr to one Vgpr
v_or_b32 v[vgprValuB_X1_I0+9], v[vgprValuB_X1_I0+9], v[vgprValuB_X1_I0_D1+9] // pack two half Vgpr to one Vgpr
v_mfma_f32_16x16x16_bf16 a[52+0:55+0], v[vgprValuB_X1_I0+2+0+0:vgprValuB_X1_I0+2+0+0+1], v[vgprValuA_X1_I0+10+0+0:vgprValuA_X1_I0+10+0+0+1], a[52:55]
/*  mfmaIndex:75  */
_buffer_load_b128 v[vgprG2LB+12:vgprG2LB+12+3], v[vgprGlobalReadOffsetB+0], s[sgprSrdB:sgprSrdB+3], s[sgprScalarGlobalReadOffsetB+2], offen offset:0 // G -> Reg 1_0_1_0

/* local write swap offsets a */

/* local write swap offsets b */
/* pack scheduling: packAIdx:16, packBIdx:4 */
v_or_b32 v[vgprValuB_X1_I0+10], v[vgprValuB_X1_I0+10], v[vgprValuB_X1_I0_D1+10] // pack two half Vgpr to one Vgpr
v_or_b32 v[vgprValuB_X1_I0+11], v[vgprValuB_X1_I0+11], v[vgprValuB_X1_I0_D1+11] // pack two half Vgpr to one Vgpr
v_mfma_f32_16x16x16_bf16 a[48+0:51+0], v[vgprValuB_X1_I0+2+0+0:vgprValuB_X1_I0+2+0+0+1], v[vgprValuA_X1_I0+8+0+0:vgprValuA_X1_I0+8+0+0+1], a[48:51]
/*  mfmaIndex:76  */
/* pack scheduling: packAIdx:16, packBIdx:4 */
v_or_b32 v[vgprValuB_X1_I0+12], v[vgprValuB_X1_I0+12], v[vgprValuB_X1_I0_D1+12] // pack two half Vgpr to one Vgpr
v_or_b32 v[vgprValuB_X1_I0+13], v[vgprValuB_X1_I0+13], v[vgprValuB_X1_I0_D1+13] // pack two half Vgpr to one Vgpr
v_mfma_f32_16x16x16_bf16 a[44+0:47+0], v[vgprValuB_X1_I0+2+0+0:vgprValuB_X1_I0+2+0+0+1], v[vgprValuA_X1_I0+6+0+0:vgprValuA_X1_I0+6+0+0+1], a[44:47]
s_setprio 0                                        // store optimization
/*  mfmaIndex:77  */
s_waitcnt lgkmcnt(0)                               // lgkmcnt=0 vmcnt=-13wait for local write
// Skip force waitcnt0
s_barrier //
/* pack scheduling: packAIdx:16, packBIdx:4 */
v_or_b32 v[vgprValuB_X1_I0+14], v[vgprValuB_X1_I0+14], v[vgprValuB_X1_I0_D1+14] // pack two half Vgpr to one Vgpr
v_or_b32 v[vgprValuB_X1_I0+15], v[vgprValuB_X1_I0+15], v[vgprValuB_X1_I0_D1+15] // pack two half Vgpr to one Vgpr
v_mfma_f32_16x16x16_bf16 a[40+0:43+0], v[vgprValuB_X1_I0+2+0+0:vgprValuB_X1_I0+2+0+0+1], v[vgprValuA_X1_I0+4+0+0:vgprValuA_X1_I0+4+0+0+1], a[40:43]
/*  mfmaIndex:78  */
s_setprio 3                                        // store optimization
_ds_load_b32 v[vgprValuA_X0_I0_D0+0], v[vgprLocalReadAddrA] offset:0 // L -> Reg lro=0 swapByteOffset=0 ti=64 vIdx=0 rIdx=0 oIdx=0 buffer=0 iui=0
v_mfma_f32_16x16x16_bf16 a[36+0:39+0], v[vgprValuB_X1_I0+2+0+0:vgprValuB_X1_I0+2+0+0+1], v[vgprValuA_X1_I0+2+0+0:vgprValuA_X1_I0+2+0+0+1], a[36:39]
/*  mfmaIndex:79  */
_ds_load_b32 v[vgprValuA_X0_I0_D1+0], v[vgprLocalReadAddrA] offset:512 // L -> Reg lro=0 swapByteOffset=0 ti=64 vIdx=0 rIdx=1 oIdx=0 buffer=0 iui=0
v_mfma_f32_16x16x16_bf16 a[32+0:35+0], v[vgprValuB_X1_I0+2+0+0:vgprValuB_X1_I0+2+0+0+1], v[vgprValuA_X1_I0+0+0+0:vgprValuA_X1_I0+0+0+0+1], a[32:35]
/*  mfmaIndex:80  */
_ds_load_b32 v[vgprValuA_X0_I0_D2+0], v[vgprLocalReadAddrA] offset:1024 // L -> Reg lro=0 swapByteOffset=0 ti=64 vIdx=0 rIdx=2 oIdx=0 buffer=0 iui=0
v_mfma_f32_16x16x16_bf16 a[64+0:67+0], v[vgprValuB_X1_I0+4+0+0:vgprValuB_X1_I0+4+0+0+1], v[vgprValuA_X1_I0+0+0+0:vgprValuA_X1_I0+0+0+0+1], a[64:67]
/*  mfmaIndex:81  */
_ds_load_b32 v[vgprValuA_X0_I0_D3+0], v[vgprLocalReadAddrA] offset:1536 // L -> Reg lro=0 swapByteOffset=0 ti=64 vIdx=0 rIdx=3 oIdx=0 buffer=0 iui=0
v_mfma_f32_16x16x16_bf16 a[68+0:71+0], v[vgprValuB_X1_I0+4+0+0:vgprValuB_X1_I0+4+0+0+1], v[vgprValuA_X1_I0+2+0+0:vgprValuA_X1_I0+2+0+0+1], a[68:71]
/*  mfmaIndex:82  */
_ds_load_u16 v[vgprValuB_X0_I0+0], v[vgprLocalReadAddrB] offset:0 // L -> Reg lro=0 swapByteOffset=0 ti=32 vIdx=0 rIdx=0 oIdx=0 buffer=0 iui=0
v_mfma_f32_16x16x16_bf16 a[72+0:75+0], v[vgprValuB_X1_I0+4+0+0:vgprValuB_X1_I0+4+0+0+1], v[vgprValuA_X1_I0+4+0+0:vgprValuA_X1_I0+4+0+0+1], a[72:75]
/*  mfmaIndex:83  */
_ds_load_u16_d16_hi v[vgprValuB_X0_I0_D1+0], v[vgprLocalReadAddrB] offset:512 // L -> Reg lro=0 swapByteOffset=0 ti=32 vIdx=0 rIdx=1 oIdx=0 buffer=0 iui=0
v_mfma_f32_16x16x16_bf16 a[76+0:79+0], v[vgprValuB_X1_I0+4+0+0:vgprValuB_X1_I0+4+0+0+1], v[vgprValuA_X1_I0+6+0+0:vgprValuA_X1_I0+6+0+0+1], a[76:79]
/*  mfmaIndex:84  */
_ds_load_u16 v[vgprValuB_X0_I0+1], v[vgprLocalReadAddrB] offset:1024 // L -> Reg lro=0 swapByteOffset=0 ti=32 vIdx=0 rIdx=2 oIdx=0 buffer=0 iui=0
v_mfma_f32_16x16x16_bf16 a[80+0:83+0], v[vgprValuB_X1_I0+4+0+0:vgprValuB_X1_I0+4+0+0+1], v[vgprValuA_X1_I0+8+0+0:vgprValuA_X1_I0+8+0+0+1], a[80:83]
/*  mfmaIndex:85  */
_ds_load_u16_d16_hi v[vgprValuB_X0_I0_D1+1], v[vgprLocalReadAddrB] offset:1536 // L -> Reg lro=0 swapByteOffset=0 ti=32 vIdx=0 rIdx=3 oIdx=0 buffer=0 iui=0
v_mfma_f32_16x16x16_bf16 a[84+0:87+0], v[vgprValuB_X1_I0+4+0+0:vgprValuB_X1_I0+4+0+0+1], v[vgprValuA_X1_I0+10+0+0:vgprValuA_X1_I0+10+0+0+1], a[84:87]
/*  mfmaIndex:86  */
_ds_load_b32 v[vgprValuA_X0_I0_D0+1], v[vgprLocalReadAddrA] offset:128 // L -> Reg lro=0 swapByteOffset=0 ti=64 vIdx=1 rIdx=0 oIdx=0 buffer=0 iui=0
v_mfma_f32_16x16x16_bf16 a[88+0:91+0], v[vgprValuB_X1_I0+4+0+0:vgprValuB_X1_I0+4+0+0+1], v[vgprValuA_X1_I0+12+0+0:vgprValuA_X1_I0+12+0+0+1], a[88:91]
/*  mfmaIndex:87  */
_ds_load_b32 v[vgprValuA_X0_I0_D1+1], v[vgprLocalReadAddrA] offset:640 // L -> Reg lro=0 swapByteOffset=0 ti=64 vIdx=1 rIdx=1 oIdx=0 buffer=0 iui=0
v_mfma_f32_16x16x16_bf16 a[92+0:95+0], v[vgprValuB_X1_I0+4+0+0:vgprValuB_X1_I0+4+0+0+1], v[vgprValuA_X1_I0+14+0+0:vgprValuA_X1_I0+14+0+0+1], a[92:95]
/*  mfmaIndex:88  */
_ds_load_b32 v[vgprValuA_X0_I0_D2+1], v[vgprLocalReadAddrA] offset:1152 // L -> Reg lro=0 swapByteOffset=0 ti=64 vIdx=1 rIdx=2 oIdx=0 buffer=0 iui=0
v_mfma_f32_16x16x16_bf16 a[124+0:127+0], v[vgprValuB_X1_I0+6+0+0:vgprValuB_X1_I0+6+0+0+1], v[vgprValuA_X1_I0+14+0+0:vgprValuA_X1_I0+14+0+0+1], a[124:127]
/*  mfmaIndex:89  */
_ds_load_b32 v[vgprValuA_X0_I0_D3+1], v[vgprLocalReadAddrA] offset:1664 // L -> Reg lro=0 swapByteOffset=0 ti=64 vIdx=1 rIdx=3 oIdx=0 buffer=0 iui=0
v_mfma_f32_16x16x16_bf16 a[120+0:123+0], v[vgprValuB_X1_I0+6+0+0:vgprValuB_X1_I0+6+0+0+1], v[vgprValuA_X1_I0+12+0+0:vgprValuA_X1_I0+12+0+0+1], a[120:123]
/*  mfmaIndex:90  */
_ds_load_b32 v[vgprValuA_X0_I0_D0+2], v[vgprLocalReadAddrA] offset:256 // L -> Reg lro=0 swapByteOffset=0 ti=64 vIdx=2 rIdx=0 oIdx=0 buffer=0 iui=0
v_mfma_f32_16x16x16_bf16 a[116+0:119+0], v[vgprValuB_X1_I0+6+0+0:vgprValuB_X1_I0+6+0+0+1], v[vgprValuA_X1_I0+10+0+0:vgprValuA_X1_I0+10+0+0+1], a[116:119]
/*  mfmaIndex:91  */
_ds_load_b32 v[vgprValuA_X0_I0_D1+2], v[vgprLocalReadAddrA] offset:768 // L -> Reg lro=0 swapByteOffset=0 ti=64 vIdx=2 rIdx=1 oIdx=0 buffer=0 iui=0
v_mfma_f32_16x16x16_bf16 a[112+0:115+0], v[vgprValuB_X1_I0+6+0+0:vgprValuB_X1_I0+6+0+0+1], v[vgprValuA_X1_I0+8+0+0:vgprValuA_X1_I0+8+0+0+1], a[112:115]
/*  mfmaIndex:92  */
_ds_load_b32 v[vgprValuA_X0_I0_D2+2], v[vgprLocalReadAddrA] offset:1280 // L -> Reg lro=0 swapByteOffset=0 ti=64 vIdx=2 rIdx=2 oIdx=0 buffer=0 iui=0
v_mfma_f32_16x16x16_bf16 a[108+0:111+0], v[vgprValuB_X1_I0+6+0+0:vgprValuB_X1_I0+6+0+0+1], v[vgprValuA_X1_I0+6+0+0:vgprValuA_X1_I0+6+0+0+1], a[108:111]
/*  mfmaIndex:93  */
_ds_load_b32 v[vgprValuA_X0_I0_D3+2], v[vgprLocalReadAddrA] offset:1792 // L -> Reg lro=0 swapByteOffset=0 ti=64 vIdx=2 rIdx=3 oIdx=0 buffer=0 iui=0
	;; [unrolled: 12-line block ×3, first 2 shown]
v_mfma_f32_16x16x16_bf16 a[132+0:135+0], v[vgprValuB_X1_I0+8+0+0:vgprValuB_X1_I0+8+0+0+1], v[vgprValuA_X1_I0+2+0+0:vgprValuA_X1_I0+2+0+0+1], a[132:135]
/*  mfmaIndex:98  */
_ds_load_u16 v[vgprValuB_X0_I0+2], v[vgprLocalReadAddrB] offset:64 // L -> Reg lro=0 swapByteOffset=0 ti=32 vIdx=1 rIdx=0 oIdx=0 buffer=0 iui=0
v_mfma_f32_16x16x16_bf16 a[136+0:139+0], v[vgprValuB_X1_I0+8+0+0:vgprValuB_X1_I0+8+0+0+1], v[vgprValuA_X1_I0+4+0+0:vgprValuA_X1_I0+4+0+0+1], a[136:139]
/*  mfmaIndex:99  */
_ds_load_u16_d16_hi v[vgprValuB_X0_I0_D1+2], v[vgprLocalReadAddrB] offset:576 // L -> Reg lro=0 swapByteOffset=0 ti=32 vIdx=1 rIdx=1 oIdx=0 buffer=0 iui=0
v_mfma_f32_16x16x16_bf16 a[140+0:143+0], v[vgprValuB_X1_I0+8+0+0:vgprValuB_X1_I0+8+0+0+1], v[vgprValuA_X1_I0+6+0+0:vgprValuA_X1_I0+6+0+0+1], a[140:143]
/*  mfmaIndex:100  */
_ds_load_u16 v[vgprValuB_X0_I0+3], v[vgprLocalReadAddrB] offset:1088 // L -> Reg lro=0 swapByteOffset=0 ti=32 vIdx=1 rIdx=2 oIdx=0 buffer=0 iui=0
v_mfma_f32_16x16x16_bf16 a[144+0:147+0], v[vgprValuB_X1_I0+8+0+0:vgprValuB_X1_I0+8+0+0+1], v[vgprValuA_X1_I0+8+0+0:vgprValuA_X1_I0+8+0+0+1], a[144:147]
/*  mfmaIndex:101  */
_ds_load_u16_d16_hi v[vgprValuB_X0_I0_D1+3], v[vgprLocalReadAddrB] offset:1600 // L -> Reg lro=0 swapByteOffset=0 ti=32 vIdx=1 rIdx=3 oIdx=0 buffer=0 iui=0
	;; [unrolled: 6-line block ×14, first 2 shown]
v_mfma_f32_16x16x16_bf16 a[232+0:235+0], v[vgprValuB_X1_I0+14+0+0:vgprValuB_X1_I0+14+0+0+1], v[vgprValuA_X1_I0+4+0+0:vgprValuA_X1_I0+4+0+0+1], a[232:235]
/*  mfmaIndex:126  */
v_mfma_f32_16x16x16_bf16 a[228+0:231+0], v[vgprValuB_X1_I0+14+0+0:vgprValuB_X1_I0+14+0+0+1], v[vgprValuA_X1_I0+2+0+0:vgprValuA_X1_I0+2+0+0+1], a[228:231]
/*  mfmaIndex:127  */
v_mfma_f32_16x16x16_bf16 a[224+0:227+0], v[vgprValuB_X1_I0+14+0+0:vgprValuB_X1_I0+14+0+0+1], v[vgprValuA_X1_I0+0+0+0:vgprValuA_X1_I0+0+0+0+1], a[224:227]
s_setprio 0                                        // store optimization


/******************************************/
/* Unrolled Loop - End 1/2                */
/******************************************/


/* closeLoop loopL finalLoop=0 tailLoop=0 */


/******************************************/
/* Unrolled Loop 2/2 - Begin              */
/******************************************/

label_0015: // LoopCopy2 


/* Begin Each Unroll: Check VGPR.checkin for INT8 LW */


	;; [unrolled: 1-line block ×3, first 2 shown]
/* iter 0 (reset local read pointers iteration)  (swap local read pointers iteration)  */

/*  grEndMfmaIndex:12, lwStartMfmaIndex:52, lwEndMfmaIndex:75  */
/*  numMfmaForLR:50, barrierMfmaIndex:77, LocalWritePerMfma:0.310 */
/*  mfmaIndex:0  */
s_waitcnt lgkmcnt(0)                               // lgkmcnt=0 vmcnt=-1wait for prior local read local write old=0, new=0 newLW=0 newLR=0
/* pack scheduling: packAIdx:2, packBIdx:2 */
v_perm_b32 v[vgprValuA_X0_I0+0], v[vgprValuA_X0_I0_D1+0], v[vgprValuA_X0_I0_D0+0], s[sgprPackKForV0] // select K=01 for vector=0
v_perm_b32 v[vgprValuA_X0_I0+1], v[vgprValuA_X0_I0_D3+0], v[vgprValuA_X0_I0_D2+0], s[sgprPackKForV0] // select K=23 for vector=0
v_or_b32 v[vgprValuB_X0_I0+0], v[vgprValuB_X0_I0+0], v[vgprValuB_X0_I0_D1+0] // pack two half Vgpr to one Vgpr
v_or_b32 v[vgprValuB_X0_I0+1], v[vgprValuB_X0_I0+1], v[vgprValuB_X0_I0_D1+1] // pack two half Vgpr to one Vgpr
v_perm_b32 v[vgprValuA_X0_I0+2], v[vgprValuA_X0_I0_D1+0], v[vgprValuA_X0_I0_D0+0], s[sgprPackKForV1] // select K=01 for vector=1
v_perm_b32 v[vgprValuA_X0_I0+3], v[vgprValuA_X0_I0_D3+0], v[vgprValuA_X0_I0_D2+0], s[sgprPackKForV1] // select K=23 for vector=1
v_mfma_f32_16x16x16_bf16 a[0+0:3+0], v[vgprValuB_X0_I0+0+0+0:vgprValuB_X0_I0+0+0+0+1], v[vgprValuA_X0_I0+0+0+0:vgprValuA_X0_I0+0+0+0+1], a[0:3]
/*  mfmaIndex:1  */
_ds_load_b32 v[vgprValuA_X1_I0_D0+0], v[vgprLocalReadAddrA] offset:8192 // L -> Reg lro=4096 swapByteOffset=0 ti=64 vIdx=0 rIdx=0 oIdx=0 buffer=1 iui=0

/* global read inc A loopL */
s_add_u32 s[sgprSrdA+0], s[sgprSrdA+0], s[sgprGlobalReadIncsA+0] // gra SRD += inc(lower)
/* pack scheduling: packAIdx:4, packBIdx:2 */
v_perm_b32 v[vgprValuA_X0_I0+4], v[vgprValuA_X0_I0_D1+1], v[vgprValuA_X0_I0_D0+1], s[sgprPackKForV0] // select K=01 for vector=0
v_perm_b32 v[vgprValuA_X0_I0+5], v[vgprValuA_X0_I0_D3+1], v[vgprValuA_X0_I0_D2+1], s[sgprPackKForV0] // select K=23 for vector=0
v_mfma_f32_16x16x16_bf16 a[4+0:7+0], v[vgprValuB_X0_I0+0+0+0:vgprValuB_X0_I0+0+0+0+1], v[vgprValuA_X0_I0+2+0+0:vgprValuA_X0_I0+2+0+0+1], a[4:7]
/*  mfmaIndex:2  */
_ds_load_b32 v[vgprValuA_X1_I0_D1+0], v[vgprLocalReadAddrA] offset:8704 // L -> Reg lro=4096 swapByteOffset=0 ti=64 vIdx=0 rIdx=1 oIdx=0 buffer=1 iui=0
s_addc_u32  s[sgprSrdA+1], s[sgprSrdA+1], 0        // gra SRD += inc(upper)
/* pack scheduling: packAIdx:6, packBIdx:2 */
v_perm_b32 v[vgprValuA_X0_I0+6], v[vgprValuA_X0_I0_D1+1], v[vgprValuA_X0_I0_D0+1], s[sgprPackKForV1] // select K=01 for vector=1
v_perm_b32 v[vgprValuA_X0_I0+7], v[vgprValuA_X0_I0_D3+1], v[vgprValuA_X0_I0_D2+1], s[sgprPackKForV1] // select K=23 for vector=1
v_mfma_f32_16x16x16_bf16 a[8+0:11+0], v[vgprValuB_X0_I0+0+0+0:vgprValuB_X0_I0+0+0+0+1], v[vgprValuA_X0_I0+4+0+0:vgprValuA_X0_I0+4+0+0+1], a[8:11]
/*  mfmaIndex:3  */
_ds_load_b32 v[vgprValuA_X1_I0_D2+0], v[vgprLocalReadAddrA] offset:9216 // L -> Reg lro=4096 swapByteOffset=0 ti=64 vIdx=0 rIdx=2 oIdx=0 buffer=1 iui=0
s_sub_u32 s[sgprShadowLimitA+0], s[sgprShadowLimitA+0], s[sgprGlobalReadIncsA+0] // limit -= inc)
/* pack scheduling: packAIdx:8, packBIdx:2 */
v_perm_b32 v[vgprValuA_X0_I0+8], v[vgprValuA_X0_I0_D1+2], v[vgprValuA_X0_I0_D0+2], s[sgprPackKForV0] // select K=01 for vector=0
v_perm_b32 v[vgprValuA_X0_I0+9], v[vgprValuA_X0_I0_D3+2], v[vgprValuA_X0_I0_D2+2], s[sgprPackKForV0] // select K=23 for vector=0
v_mfma_f32_16x16x16_bf16 a[12+0:15+0], v[vgprValuB_X0_I0+0+0+0:vgprValuB_X0_I0+0+0+0+1], v[vgprValuA_X0_I0+6+0+0:vgprValuA_X0_I0+6+0+0+1], a[12:15]
/*  mfmaIndex:4  */
_ds_load_b32 v[vgprValuA_X1_I0_D3+0], v[vgprLocalReadAddrA] offset:9728 // L -> Reg lro=4096 swapByteOffset=0 ti=64 vIdx=0 rIdx=3 oIdx=0 buffer=1 iui=0
s_subb_u32 s[sgprShadowLimitA+1], s[sgprShadowLimitA+1], 0 // limit -= inc)
/* pack scheduling: packAIdx:10, packBIdx:2 */
v_perm_b32 v[vgprValuA_X0_I0+10], v[vgprValuA_X0_I0_D1+2], v[vgprValuA_X0_I0_D0+2], s[sgprPackKForV1] // select K=01 for vector=1
v_perm_b32 v[vgprValuA_X0_I0+11], v[vgprValuA_X0_I0_D3+2], v[vgprValuA_X0_I0_D2+2], s[sgprPackKForV1] // select K=23 for vector=1
v_mfma_f32_16x16x16_bf16 a[16+0:19+0], v[vgprValuB_X0_I0+0+0+0:vgprValuB_X0_I0+0+0+0+1], v[vgprValuA_X0_I0+8+0+0:vgprValuA_X0_I0+8+0+0+1], a[16:19]
/*  mfmaIndex:5  */
_ds_load_u16 v[vgprValuB_X1_I0+0], v[vgprLocalReadAddrB] offset:8448 // L -> Reg lro=4096 swapByteOffset=0 ti=32 vIdx=0 rIdx=0 oIdx=0 buffer=1 iui=0
s_cmp_eq_u32 s[sgprShadowLimitA+1], 0              // are we within 2^32?
/* pack scheduling: packAIdx:12, packBIdx:2 */
v_perm_b32 v[vgprValuA_X0_I0+12], v[vgprValuA_X0_I0_D1+3], v[vgprValuA_X0_I0_D0+3], s[sgprPackKForV0] // select K=01 for vector=0
v_perm_b32 v[vgprValuA_X0_I0+13], v[vgprValuA_X0_I0_D3+3], v[vgprValuA_X0_I0_D2+3], s[sgprPackKForV0] // select K=23 for vector=0
v_mfma_f32_16x16x16_bf16 a[20+0:23+0], v[vgprValuB_X0_I0+0+0+0:vgprValuB_X0_I0+0+0+0+1], v[vgprValuA_X0_I0+10+0+0:vgprValuA_X0_I0+10+0+0+1], a[20:23]
/*  mfmaIndex:6  */
_ds_load_u16_d16_hi v[vgprValuB_X1_I0_D1+0], v[vgprLocalReadAddrB] offset:8960 // L -> Reg lro=4096 swapByteOffset=0 ti=32 vIdx=0 rIdx=1 oIdx=0 buffer=1 iui=0
s_cmov_b32 s[sgprSrdA+2], s[sgprShadowLimitA+0]    // Move shadow to real if we are within 2^32
/* pack scheduling: packAIdx:14, packBIdx:2 */
v_perm_b32 v[vgprValuA_X0_I0+14], v[vgprValuA_X0_I0_D1+3], v[vgprValuA_X0_I0_D0+3], s[sgprPackKForV1] // select K=01 for vector=1
v_perm_b32 v[vgprValuA_X0_I0+15], v[vgprValuA_X0_I0_D3+3], v[vgprValuA_X0_I0_D2+3], s[sgprPackKForV1] // select K=23 for vector=1
v_mfma_f32_16x16x16_bf16 a[24+0:27+0], v[vgprValuB_X0_I0+0+0+0:vgprValuB_X0_I0+0+0+0+1], v[vgprValuA_X0_I0+12+0+0:vgprValuA_X0_I0+12+0+0+1], a[24:27]
/*  mfmaIndex:7  */
_ds_load_u16 v[vgprValuB_X1_I0+1], v[vgprLocalReadAddrB] offset:9472 // L -> Reg lro=4096 swapByteOffset=0 ti=32 vIdx=0 rIdx=2 oIdx=0 buffer=1 iui=0

/* global read inc B loopL */
s_add_u32 s[sgprSrdB+0], s[sgprSrdB+0], s[sgprGlobalReadIncsB+0] // gra SRD += inc(lower)
/* pack scheduling: packAIdx:16, packBIdx:2 */
v_or_b32 v[vgprValuB_X0_I0+2], v[vgprValuB_X0_I0+2], v[vgprValuB_X0_I0_D1+2] // pack two half Vgpr to one Vgpr
v_or_b32 v[vgprValuB_X0_I0+3], v[vgprValuB_X0_I0+3], v[vgprValuB_X0_I0_D1+3] // pack two half Vgpr to one Vgpr
v_mfma_f32_16x16x16_bf16 a[28+0:31+0], v[vgprValuB_X0_I0+0+0+0:vgprValuB_X0_I0+0+0+0+1], v[vgprValuA_X0_I0+14+0+0:vgprValuA_X0_I0+14+0+0+1], a[28:31]
/*  mfmaIndex:8  */
_ds_load_u16_d16_hi v[vgprValuB_X1_I0_D1+1], v[vgprLocalReadAddrB] offset:9984 // L -> Reg lro=4096 swapByteOffset=0 ti=32 vIdx=0 rIdx=3 oIdx=0 buffer=1 iui=0
s_addc_u32  s[sgprSrdB+1], s[sgprSrdB+1], 0        // gra SRD += inc(upper)
/* pack scheduling: packAIdx:16, packBIdx:4 */
v_or_b32 v[vgprValuB_X0_I0+4], v[vgprValuB_X0_I0+4], v[vgprValuB_X0_I0_D1+4] // pack two half Vgpr to one Vgpr
v_or_b32 v[vgprValuB_X0_I0+5], v[vgprValuB_X0_I0+5], v[vgprValuB_X0_I0_D1+5] // pack two half Vgpr to one Vgpr
v_mfma_f32_16x16x16_bf16 a[60+0:63+0], v[vgprValuB_X0_I0+2+0+0:vgprValuB_X0_I0+2+0+0+1], v[vgprValuA_X0_I0+14+0+0:vgprValuA_X0_I0+14+0+0+1], a[60:63]
/*  mfmaIndex:9  */
_ds_load_b32 v[vgprValuA_X1_I0_D0+1], v[vgprLocalReadAddrA] offset:8320 // L -> Reg lro=4096 swapByteOffset=0 ti=64 vIdx=1 rIdx=0 oIdx=0 buffer=1 iui=0
s_sub_u32 s[sgprShadowLimitB+0], s[sgprShadowLimitB+0], s[sgprGlobalReadIncsB+0] // limit -= inc)
/* pack scheduling: packAIdx:16, packBIdx:4 */
v_or_b32 v[vgprValuB_X0_I0+6], v[vgprValuB_X0_I0+6], v[vgprValuB_X0_I0_D1+6] // pack two half Vgpr to one Vgpr
v_or_b32 v[vgprValuB_X0_I0+7], v[vgprValuB_X0_I0+7], v[vgprValuB_X0_I0_D1+7] // pack two half Vgpr to one Vgpr
v_mfma_f32_16x16x16_bf16 a[56+0:59+0], v[vgprValuB_X0_I0+2+0+0:vgprValuB_X0_I0+2+0+0+1], v[vgprValuA_X0_I0+12+0+0:vgprValuA_X0_I0+12+0+0+1], a[56:59]
/*  mfmaIndex:10  */
_ds_load_b32 v[vgprValuA_X1_I0_D1+1], v[vgprLocalReadAddrA] offset:8832 // L -> Reg lro=4096 swapByteOffset=0 ti=64 vIdx=1 rIdx=1 oIdx=0 buffer=1 iui=0
s_subb_u32 s[sgprShadowLimitB+1], s[sgprShadowLimitB+1], 0 // limit -= inc)
/* pack scheduling: packAIdx:16, packBIdx:4 */
v_or_b32 v[vgprValuB_X0_I0+8], v[vgprValuB_X0_I0+8], v[vgprValuB_X0_I0_D1+8] // pack two half Vgpr to one Vgpr
v_or_b32 v[vgprValuB_X0_I0+9], v[vgprValuB_X0_I0+9], v[vgprValuB_X0_I0_D1+9] // pack two half Vgpr to one Vgpr
v_mfma_f32_16x16x16_bf16 a[52+0:55+0], v[vgprValuB_X0_I0+2+0+0:vgprValuB_X0_I0+2+0+0+1], v[vgprValuA_X0_I0+10+0+0:vgprValuA_X0_I0+10+0+0+1], a[52:55]
/*  mfmaIndex:11  */
_ds_load_b32 v[vgprValuA_X1_I0_D2+1], v[vgprLocalReadAddrA] offset:9344 // L -> Reg lro=4096 swapByteOffset=0 ti=64 vIdx=1 rIdx=2 oIdx=0 buffer=1 iui=0
s_cmp_eq_u32 s[sgprShadowLimitB+1], 0              // are we within 2^32?
/* pack scheduling: packAIdx:16, packBIdx:4 */
v_or_b32 v[vgprValuB_X0_I0+10], v[vgprValuB_X0_I0+10], v[vgprValuB_X0_I0_D1+10] // pack two half Vgpr to one Vgpr
v_or_b32 v[vgprValuB_X0_I0+11], v[vgprValuB_X0_I0+11], v[vgprValuB_X0_I0_D1+11] // pack two half Vgpr to one Vgpr
v_mfma_f32_16x16x16_bf16 a[48+0:51+0], v[vgprValuB_X0_I0+2+0+0:vgprValuB_X0_I0+2+0+0+1], v[vgprValuA_X0_I0+8+0+0:vgprValuA_X0_I0+8+0+0+1], a[48:51]
/*  mfmaIndex:12  */
_ds_load_b32 v[vgprValuA_X1_I0_D3+1], v[vgprLocalReadAddrA] offset:9856 // L -> Reg lro=4096 swapByteOffset=0 ti=64 vIdx=1 rIdx=3 oIdx=0 buffer=1 iui=0
s_cmov_b32 s[sgprSrdB+2], s[sgprShadowLimitB+0]    // Move shadow to real if we are within 2^32
/* pack scheduling: packAIdx:16, packBIdx:4 */
v_or_b32 v[vgprValuB_X0_I0+12], v[vgprValuB_X0_I0+12], v[vgprValuB_X0_I0_D1+12] // pack two half Vgpr to one Vgpr
v_or_b32 v[vgprValuB_X0_I0+13], v[vgprValuB_X0_I0+13], v[vgprValuB_X0_I0_D1+13] // pack two half Vgpr to one Vgpr
v_mfma_f32_16x16x16_bf16 a[44+0:47+0], v[vgprValuB_X0_I0+2+0+0:vgprValuB_X0_I0+2+0+0+1], v[vgprValuA_X0_I0+6+0+0:vgprValuA_X0_I0+6+0+0+1], a[44:47]
/*  mfmaIndex:13  */
_ds_load_b32 v[vgprValuA_X1_I0_D0+2], v[vgprLocalReadAddrA] offset:8448 // L -> Reg lro=4096 swapByteOffset=0 ti=64 vIdx=2 rIdx=0 oIdx=0 buffer=1 iui=0
/* pack scheduling: packAIdx:16, packBIdx:4 */
v_or_b32 v[vgprValuB_X0_I0+14], v[vgprValuB_X0_I0+14], v[vgprValuB_X0_I0_D1+14] // pack two half Vgpr to one Vgpr
v_or_b32 v[vgprValuB_X0_I0+15], v[vgprValuB_X0_I0+15], v[vgprValuB_X0_I0_D1+15] // pack two half Vgpr to one Vgpr
v_mfma_f32_16x16x16_bf16 a[40+0:43+0], v[vgprValuB_X0_I0+2+0+0:vgprValuB_X0_I0+2+0+0+1], v[vgprValuA_X0_I0+4+0+0:vgprValuA_X0_I0+4+0+0+1], a[40:43]
/*  mfmaIndex:14  */
_ds_load_b32 v[vgprValuA_X1_I0_D1+2], v[vgprLocalReadAddrA] offset:8960 // L -> Reg lro=4096 swapByteOffset=0 ti=64 vIdx=2 rIdx=1 oIdx=0 buffer=1 iui=0
v_mfma_f32_16x16x16_bf16 a[36+0:39+0], v[vgprValuB_X0_I0+2+0+0:vgprValuB_X0_I0+2+0+0+1], v[vgprValuA_X0_I0+2+0+0:vgprValuA_X0_I0+2+0+0+1], a[36:39]
/*  mfmaIndex:15  */
_ds_load_b32 v[vgprValuA_X1_I0_D2+2], v[vgprLocalReadAddrA] offset:9472 // L -> Reg lro=4096 swapByteOffset=0 ti=64 vIdx=2 rIdx=2 oIdx=0 buffer=1 iui=0
v_mfma_f32_16x16x16_bf16 a[32+0:35+0], v[vgprValuB_X0_I0+2+0+0:vgprValuB_X0_I0+2+0+0+1], v[vgprValuA_X0_I0+0+0+0:vgprValuA_X0_I0+0+0+0+1], a[32:35]
/*  mfmaIndex:16  */
_ds_load_b32 v[vgprValuA_X1_I0_D3+2], v[vgprLocalReadAddrA] offset:9984 // L -> Reg lro=4096 swapByteOffset=0 ti=64 vIdx=2 rIdx=3 oIdx=0 buffer=1 iui=0
v_mfma_f32_16x16x16_bf16 a[64+0:67+0], v[vgprValuB_X0_I0+4+0+0:vgprValuB_X0_I0+4+0+0+1], v[vgprValuA_X0_I0+0+0+0:vgprValuA_X0_I0+0+0+0+1], a[64:67]
/*  mfmaIndex:17  */
_ds_load_b32 v[vgprValuA_X1_I0_D0+3], v[vgprLocalReadAddrA] offset:8576 // L -> Reg lro=4096 swapByteOffset=0 ti=64 vIdx=3 rIdx=0 oIdx=0 buffer=1 iui=0
v_mfma_f32_16x16x16_bf16 a[68+0:71+0], v[vgprValuB_X0_I0+4+0+0:vgprValuB_X0_I0+4+0+0+1], v[vgprValuA_X0_I0+2+0+0:vgprValuA_X0_I0+2+0+0+1], a[68:71]
/*  mfmaIndex:18  */
_ds_load_b32 v[vgprValuA_X1_I0_D1+3], v[vgprLocalReadAddrA] offset:9088 // L -> Reg lro=4096 swapByteOffset=0 ti=64 vIdx=3 rIdx=1 oIdx=0 buffer=1 iui=0
v_mfma_f32_16x16x16_bf16 a[72+0:75+0], v[vgprValuB_X0_I0+4+0+0:vgprValuB_X0_I0+4+0+0+1], v[vgprValuA_X0_I0+4+0+0:vgprValuA_X0_I0+4+0+0+1], a[72:75]
/*  mfmaIndex:19  */
_ds_load_b32 v[vgprValuA_X1_I0_D2+3], v[vgprLocalReadAddrA] offset:9600 // L -> Reg lro=4096 swapByteOffset=0 ti=64 vIdx=3 rIdx=2 oIdx=0 buffer=1 iui=0
v_mfma_f32_16x16x16_bf16 a[76+0:79+0], v[vgprValuB_X0_I0+4+0+0:vgprValuB_X0_I0+4+0+0+1], v[vgprValuA_X0_I0+6+0+0:vgprValuA_X0_I0+6+0+0+1], a[76:79]
/*  mfmaIndex:20  */
_ds_load_b32 v[vgprValuA_X1_I0_D3+3], v[vgprLocalReadAddrA] offset:10112 // L -> Reg lro=4096 swapByteOffset=0 ti=64 vIdx=3 rIdx=3 oIdx=0 buffer=1 iui=0
v_mfma_f32_16x16x16_bf16 a[80+0:83+0], v[vgprValuB_X0_I0+4+0+0:vgprValuB_X0_I0+4+0+0+1], v[vgprValuA_X0_I0+8+0+0:vgprValuA_X0_I0+8+0+0+1], a[80:83]
/*  mfmaIndex:21  */
_ds_load_u16 v[vgprValuB_X1_I0+2], v[vgprLocalReadAddrB] offset:8512 // L -> Reg lro=4096 swapByteOffset=0 ti=32 vIdx=1 rIdx=0 oIdx=0 buffer=1 iui=0
v_mfma_f32_16x16x16_bf16 a[84+0:87+0], v[vgprValuB_X0_I0+4+0+0:vgprValuB_X0_I0+4+0+0+1], v[vgprValuA_X0_I0+10+0+0:vgprValuA_X0_I0+10+0+0+1], a[84:87]
/*  mfmaIndex:22  */
_ds_load_u16_d16_hi v[vgprValuB_X1_I0_D1+2], v[vgprLocalReadAddrB] offset:9024 // L -> Reg lro=4096 swapByteOffset=0 ti=32 vIdx=1 rIdx=1 oIdx=0 buffer=1 iui=0
v_mfma_f32_16x16x16_bf16 a[88+0:91+0], v[vgprValuB_X0_I0+4+0+0:vgprValuB_X0_I0+4+0+0+1], v[vgprValuA_X0_I0+12+0+0:vgprValuA_X0_I0+12+0+0+1], a[88:91]
/*  mfmaIndex:23  */
_ds_load_u16 v[vgprValuB_X1_I0+3], v[vgprLocalReadAddrB] offset:9536 // L -> Reg lro=4096 swapByteOffset=0 ti=32 vIdx=1 rIdx=2 oIdx=0 buffer=1 iui=0
v_mfma_f32_16x16x16_bf16 a[92+0:95+0], v[vgprValuB_X0_I0+4+0+0:vgprValuB_X0_I0+4+0+0+1], v[vgprValuA_X0_I0+14+0+0:vgprValuA_X0_I0+14+0+0+1], a[92:95]
/*  mfmaIndex:24  */
_ds_load_u16_d16_hi v[vgprValuB_X1_I0_D1+3], v[vgprLocalReadAddrB] offset:10048 // L -> Reg lro=4096 swapByteOffset=0 ti=32 vIdx=1 rIdx=3 oIdx=0 buffer=1 iui=0
	;; [unrolled: 6-line block ×14, first 2 shown]
v_mfma_f32_16x16x16_bf16 a[192+0:195+0], v[vgprValuB_X0_I0+12+0+0:vgprValuB_X0_I0+12+0+0+1], v[vgprValuA_X0_I0+0+0+0:vgprValuA_X0_I0+0+0+0+1], a[192:195]
/*  mfmaIndex:49  */
/* localReadsVacancy: latencyLeft 2 */
v_mfma_f32_16x16x16_bf16 a[196+0:199+0], v[vgprValuB_X0_I0+12+0+0:vgprValuB_X0_I0+12+0+0+1], v[vgprValuA_X0_I0+2+0+0:vgprValuA_X0_I0+2+0+0+1], a[196:199]
/*  mfmaIndex:50  */
/* localReadsVacancy: latencyLeft 2 */
	;; [unrolled: 3-line block ×3, first 2 shown]
/* 1 LDS buffer: read-sync-write */
s_waitcnt lgkmcnt(0)                               // 
s_barrier                                          // 
v_mfma_f32_16x16x16_bf16 a[204+0:207+0], v[vgprValuB_X0_I0+12+0+0:vgprValuB_X0_I0+12+0+0+1], v[vgprValuA_X0_I0+6+0+0:vgprValuA_X0_I0+6+0+0+1], a[204:207]
/*  mfmaIndex:52  */
s_setprio 3                                        // store optimization
/* sched write - iter 0 writesPerItem=1 */
s_waitcnt vmcnt(0)                                 // lgkmcnt=-1 vmcnt=0wait for global read before writing to local
_ds_store_b128 v[vgprLocalWriteAddrA], v[vgprG2LA+0:vgprG2LA+0+3] offset:0 // lwoA_0_0_0_0 = (0*LSCA) + (0*LSPA)(*MT0I+PAD) = 0
v_mfma_f32_16x16x16_bf16 a[208+0:211+0], v[vgprValuB_X0_I0+12+0+0:vgprValuB_X0_I0+12+0+0+1], v[vgprValuA_X0_I0+8+0+0:vgprValuA_X0_I0+8+0+0+1], a[208:211]
/*  mfmaIndex:53  */
_buffer_load_b128 v[vgprG2LA+0:vgprG2LA+0+3], v[vgprGlobalReadOffsetA+0], s[sgprSrdA:sgprSrdA+3], 0, offen offset:0 // G -> Reg 0_0_0_0
v_mfma_f32_16x16x16_bf16 a[212+0:215+0], v[vgprValuB_X0_I0+12+0+0:vgprValuB_X0_I0+12+0+0+1], v[vgprValuA_X0_I0+10+0+0:vgprValuA_X0_I0+10+0+0+1], a[212:215]
/*  mfmaIndex:54  */
v_mfma_f32_16x16x16_bf16 a[216+0:219+0], v[vgprValuB_X0_I0+12+0+0:vgprValuB_X0_I0+12+0+0+1], v[vgprValuA_X0_I0+12+0+0:vgprValuA_X0_I0+12+0+0+1], a[216:219]
/*  mfmaIndex:55  */
/* sched write - iter 0 writesPerItem=1 */
s_waitcnt vmcnt(0)                                 // lgkmcnt=-1 vmcnt=0wait for global read before writing to local
_ds_store_b128 v[vgprLocalWriteAddrA], v[vgprG2LA+4:vgprG2LA+4+3] offset:256 // lwoA_1_0_0_0 = (1*LSCA) + (0*LSPA)(*MT0I+PAD) = 256
v_mfma_f32_16x16x16_bf16 a[220+0:223+0], v[vgprValuB_X0_I0+12+0+0:vgprValuB_X0_I0+12+0+0+1], v[vgprValuA_X0_I0+14+0+0:vgprValuA_X0_I0+14+0+0+1], a[220:223]
/*  mfmaIndex:56  */
_buffer_load_b128 v[vgprG2LA+4:vgprG2LA+4+3], v[vgprGlobalReadOffsetA+0], s[sgprSrdA:sgprSrdA+3], s[sgprScalarGlobalReadOffsetA+0], offen offset:0 // G -> Reg 1_0_0_0
v_mfma_f32_16x16x16_bf16 a[252+0:255+0], v[vgprValuB_X0_I0+14+0+0:vgprValuB_X0_I0+14+0+0+1], v[vgprValuA_X0_I0+14+0+0:vgprValuA_X0_I0+14+0+0+1], a[252:255]
/*  mfmaIndex:57  */
v_mfma_f32_16x16x16_bf16 a[248+0:251+0], v[vgprValuB_X0_I0+14+0+0:vgprValuB_X0_I0+14+0+0+1], v[vgprValuA_X0_I0+12+0+0:vgprValuA_X0_I0+12+0+0+1], a[248:251]
/*  mfmaIndex:58  */
/* sched write - iter 0 writesPerItem=1 */
s_waitcnt vmcnt(0)                                 // lgkmcnt=-1 vmcnt=0wait for global read before writing to local
_ds_store_b128 v[vgprLocalWriteAddrA], v[vgprG2LA+8:vgprG2LA+8+3] offset:2048 // lwoA_0_0_1_0 = (0*LSCA) + (1*LSPA)(*MT0I+PAD) = 2048
v_mfma_f32_16x16x16_bf16 a[244+0:247+0], v[vgprValuB_X0_I0+14+0+0:vgprValuB_X0_I0+14+0+0+1], v[vgprValuA_X0_I0+10+0+0:vgprValuA_X0_I0+10+0+0+1], a[244:247]
/*  mfmaIndex:59  */
_buffer_load_b128 v[vgprG2LA+8:vgprG2LA+8+3], v[vgprGlobalReadOffsetA+0], s[sgprSrdA:sgprSrdA+3], s[sgprScalarGlobalReadOffsetA+1], offen offset:0 // G -> Reg 0_0_1_0
v_mfma_f32_16x16x16_bf16 a[240+0:243+0], v[vgprValuB_X0_I0+14+0+0:vgprValuB_X0_I0+14+0+0+1], v[vgprValuA_X0_I0+8+0+0:vgprValuA_X0_I0+8+0+0+1], a[240:243]
/*  mfmaIndex:60  */
v_mfma_f32_16x16x16_bf16 a[236+0:239+0], v[vgprValuB_X0_I0+14+0+0:vgprValuB_X0_I0+14+0+0+1], v[vgprValuA_X0_I0+6+0+0:vgprValuA_X0_I0+6+0+0+1], a[236:239]
/*  mfmaIndex:61  */
/* sched write - iter 0 writesPerItem=1 */
s_waitcnt vmcnt(0)                                 // lgkmcnt=-1 vmcnt=0wait for global read before writing to local
_ds_store_b128 v[vgprLocalWriteAddrA], v[vgprG2LA+12:vgprG2LA+12+3] offset:2304 // lwoA_1_0_1_0 = (1*LSCA) + (1*LSPA)(*MT0I+PAD) = 2304
v_mfma_f32_16x16x16_bf16 a[232+0:235+0], v[vgprValuB_X0_I0+14+0+0:vgprValuB_X0_I0+14+0+0+1], v[vgprValuA_X0_I0+4+0+0:vgprValuA_X0_I0+4+0+0+1], a[232:235]
/*  mfmaIndex:62  */
_buffer_load_b128 v[vgprG2LA+12:vgprG2LA+12+3], v[vgprGlobalReadOffsetA+0], s[sgprSrdA:sgprSrdA+3], s[sgprScalarGlobalReadOffsetA+2], offen offset:0 // G -> Reg 1_0_1_0
v_mfma_f32_16x16x16_bf16 a[228+0:231+0], v[vgprValuB_X0_I0+14+0+0:vgprValuB_X0_I0+14+0+0+1], v[vgprValuA_X0_I0+2+0+0:vgprValuA_X0_I0+2+0+0+1], a[228:231]
/*  mfmaIndex:63  */

/* local read swap offsets a */

/* local read swap offsets b */

/* local read init pointers a */

/* localReadInitPointers */

/* local read init pointers b */

/* localReadInitPointers */
v_mfma_f32_16x16x16_bf16 a[224+0:227+0], v[vgprValuB_X0_I0+14+0+0:vgprValuB_X0_I0+14+0+0+1], v[vgprValuA_X0_I0+0+0+0:vgprValuA_X0_I0+0+0+0+1], a[224:227]
/* numPrefetchIter=0 */
/* dataAtIterA=-1 numReadsIterA=1 skipReadsIterA=1 readsPerIterA=16 */
/* dataAtIterB=-1 numReadsIterB=1 skipReadsIterB=1 readsPerIterB=32 */


/* iter 1 (swap and reset local write pointers iteration)  */

/*  grEndMfmaIndex:12, lwStartMfmaIndex:52, lwEndMfmaIndex:75  */
/*  numMfmaForLR:50, barrierMfmaIndex:77, LocalWritePerMfma:0.310 */
/*  mfmaIndex:64  */
/* sched write - iter 1 writesPerItem=1 */
s_waitcnt vmcnt(0)                                 // lgkmcnt=-1 vmcnt=0wait for global read before writing to local
_ds_store_b128 v[vgprLocalWriteAddrB], v[vgprG2LB+0:vgprG2LB+0+3] offset:0 // lwoB_0_0_0_0 = (0*LSCB) + (0*LSPB)(*MT1J+PAD) = 0
/* pack scheduling: packAIdx:2, packBIdx:2 */
v_perm_b32 v[vgprValuA_X1_I0+0], v[vgprValuA_X1_I0_D1+0], v[vgprValuA_X1_I0_D0+0], s[sgprPackKForV0] // select K=01 for vector=0
v_perm_b32 v[vgprValuA_X1_I0+1], v[vgprValuA_X1_I0_D3+0], v[vgprValuA_X1_I0_D2+0], s[sgprPackKForV0] // select K=23 for vector=0
v_or_b32 v[vgprValuB_X1_I0+0], v[vgprValuB_X1_I0+0], v[vgprValuB_X1_I0_D1+0] // pack two half Vgpr to one Vgpr
v_or_b32 v[vgprValuB_X1_I0+1], v[vgprValuB_X1_I0+1], v[vgprValuB_X1_I0_D1+1] // pack two half Vgpr to one Vgpr
v_perm_b32 v[vgprValuA_X1_I0+2], v[vgprValuA_X1_I0_D1+0], v[vgprValuA_X1_I0_D0+0], s[sgprPackKForV1] // select K=01 for vector=1
v_perm_b32 v[vgprValuA_X1_I0+3], v[vgprValuA_X1_I0_D3+0], v[vgprValuA_X1_I0_D2+0], s[sgprPackKForV1] // select K=23 for vector=1
v_mfma_f32_16x16x16_bf16 a[0+0:3+0], v[vgprValuB_X1_I0+0+0+0:vgprValuB_X1_I0+0+0+0+1], v[vgprValuA_X1_I0+0+0+0:vgprValuA_X1_I0+0+0+0+1], a[0:3]
/*  mfmaIndex:65  */
_buffer_load_b128 v[vgprG2LB+0:vgprG2LB+0+3], v[vgprGlobalReadOffsetB+0], s[sgprSrdB:sgprSrdB+3], 0, offen offset:0 // G -> Reg 0_0_0_0
/* pack scheduling: packAIdx:4, packBIdx:2 */
v_perm_b32 v[vgprValuA_X1_I0+4], v[vgprValuA_X1_I0_D1+1], v[vgprValuA_X1_I0_D0+1], s[sgprPackKForV0] // select K=01 for vector=0
v_perm_b32 v[vgprValuA_X1_I0+5], v[vgprValuA_X1_I0_D3+1], v[vgprValuA_X1_I0_D2+1], s[sgprPackKForV0] // select K=23 for vector=0
v_mfma_f32_16x16x16_bf16 a[4+0:7+0], v[vgprValuB_X1_I0+0+0+0:vgprValuB_X1_I0+0+0+0+1], v[vgprValuA_X1_I0+2+0+0:vgprValuA_X1_I0+2+0+0+1], a[4:7]
/*  mfmaIndex:66  */
/* pack scheduling: packAIdx:6, packBIdx:2 */
v_perm_b32 v[vgprValuA_X1_I0+6], v[vgprValuA_X1_I0_D1+1], v[vgprValuA_X1_I0_D0+1], s[sgprPackKForV1] // select K=01 for vector=1
v_perm_b32 v[vgprValuA_X1_I0+7], v[vgprValuA_X1_I0_D3+1], v[vgprValuA_X1_I0_D2+1], s[sgprPackKForV1] // select K=23 for vector=1
v_mfma_f32_16x16x16_bf16 a[8+0:11+0], v[vgprValuB_X1_I0+0+0+0:vgprValuB_X1_I0+0+0+0+1], v[vgprValuA_X1_I0+4+0+0:vgprValuA_X1_I0+4+0+0+1], a[8:11]
/*  mfmaIndex:67  */
/* pack scheduling: packAIdx:8, packBIdx:2 */
v_perm_b32 v[vgprValuA_X1_I0+8], v[vgprValuA_X1_I0_D1+2], v[vgprValuA_X1_I0_D0+2], s[sgprPackKForV0] // select K=01 for vector=0
v_perm_b32 v[vgprValuA_X1_I0+9], v[vgprValuA_X1_I0_D3+2], v[vgprValuA_X1_I0_D2+2], s[sgprPackKForV0] // select K=23 for vector=0
v_mfma_f32_16x16x16_bf16 a[12+0:15+0], v[vgprValuB_X1_I0+0+0+0:vgprValuB_X1_I0+0+0+0+1], v[vgprValuA_X1_I0+6+0+0:vgprValuA_X1_I0+6+0+0+1], a[12:15]
/*  mfmaIndex:68  */
/* sched write - iter 1 writesPerItem=1 */
s_waitcnt vmcnt(0)                                 // lgkmcnt=-1 vmcnt=0wait for global read before writing to local
_ds_store_b128 v[vgprLocalWriteAddrB], v[vgprG2LB+4:vgprG2LB+4+3] offset:256 // lwoB_1_0_0_0 = (1*LSCB) + (0*LSPB)(*MT1J+PAD) = 256
/* pack scheduling: packAIdx:10, packBIdx:2 */
v_perm_b32 v[vgprValuA_X1_I0+10], v[vgprValuA_X1_I0_D1+2], v[vgprValuA_X1_I0_D0+2], s[sgprPackKForV1] // select K=01 for vector=1
v_perm_b32 v[vgprValuA_X1_I0+11], v[vgprValuA_X1_I0_D3+2], v[vgprValuA_X1_I0_D2+2], s[sgprPackKForV1] // select K=23 for vector=1
v_mfma_f32_16x16x16_bf16 a[16+0:19+0], v[vgprValuB_X1_I0+0+0+0:vgprValuB_X1_I0+0+0+0+1], v[vgprValuA_X1_I0+8+0+0:vgprValuA_X1_I0+8+0+0+1], a[16:19]
/*  mfmaIndex:69  */
_buffer_load_b128 v[vgprG2LB+4:vgprG2LB+4+3], v[vgprGlobalReadOffsetB+0], s[sgprSrdB:sgprSrdB+3], s[sgprScalarGlobalReadOffsetB+0], offen offset:0 // G -> Reg 1_0_0_0
/* pack scheduling: packAIdx:12, packBIdx:2 */
v_perm_b32 v[vgprValuA_X1_I0+12], v[vgprValuA_X1_I0_D1+3], v[vgprValuA_X1_I0_D0+3], s[sgprPackKForV0] // select K=01 for vector=0
v_perm_b32 v[vgprValuA_X1_I0+13], v[vgprValuA_X1_I0_D3+3], v[vgprValuA_X1_I0_D2+3], s[sgprPackKForV0] // select K=23 for vector=0
v_mfma_f32_16x16x16_bf16 a[20+0:23+0], v[vgprValuB_X1_I0+0+0+0:vgprValuB_X1_I0+0+0+0+1], v[vgprValuA_X1_I0+10+0+0:vgprValuA_X1_I0+10+0+0+1], a[20:23]
/*  mfmaIndex:70  */
/* pack scheduling: packAIdx:14, packBIdx:2 */
v_perm_b32 v[vgprValuA_X1_I0+14], v[vgprValuA_X1_I0_D1+3], v[vgprValuA_X1_I0_D0+3], s[sgprPackKForV1] // select K=01 for vector=1
v_perm_b32 v[vgprValuA_X1_I0+15], v[vgprValuA_X1_I0_D3+3], v[vgprValuA_X1_I0_D2+3], s[sgprPackKForV1] // select K=23 for vector=1
v_mfma_f32_16x16x16_bf16 a[24+0:27+0], v[vgprValuB_X1_I0+0+0+0:vgprValuB_X1_I0+0+0+0+1], v[vgprValuA_X1_I0+12+0+0:vgprValuA_X1_I0+12+0+0+1], a[24:27]
/*  mfmaIndex:71  */
/* sched write - iter 1 writesPerItem=1 */
s_waitcnt vmcnt(0)                                 // lgkmcnt=-1 vmcnt=0wait for global read before writing to local
_ds_store_b128 v[vgprLocalWriteAddrB], v[vgprG2LB+8:vgprG2LB+8+3] offset:2112 // lwoB_0_0_1_0 = (0*LSCB) + (1*LSPB)(*MT1J+PAD) = 2112
/* pack scheduling: packAIdx:16, packBIdx:2 */
v_or_b32 v[vgprValuB_X1_I0+2], v[vgprValuB_X1_I0+2], v[vgprValuB_X1_I0_D1+2] // pack two half Vgpr to one Vgpr
v_or_b32 v[vgprValuB_X1_I0+3], v[vgprValuB_X1_I0+3], v[vgprValuB_X1_I0_D1+3] // pack two half Vgpr to one Vgpr
v_mfma_f32_16x16x16_bf16 a[28+0:31+0], v[vgprValuB_X1_I0+0+0+0:vgprValuB_X1_I0+0+0+0+1], v[vgprValuA_X1_I0+14+0+0:vgprValuA_X1_I0+14+0+0+1], a[28:31]
/*  mfmaIndex:72  */
_buffer_load_b128 v[vgprG2LB+8:vgprG2LB+8+3], v[vgprGlobalReadOffsetB+0], s[sgprSrdB:sgprSrdB+3], s[sgprScalarGlobalReadOffsetB+1], offen offset:0 // G -> Reg 0_0_1_0
/* pack scheduling: packAIdx:16, packBIdx:4 */
v_or_b32 v[vgprValuB_X1_I0+4], v[vgprValuB_X1_I0+4], v[vgprValuB_X1_I0_D1+4] // pack two half Vgpr to one Vgpr
v_or_b32 v[vgprValuB_X1_I0+5], v[vgprValuB_X1_I0+5], v[vgprValuB_X1_I0_D1+5] // pack two half Vgpr to one Vgpr
v_mfma_f32_16x16x16_bf16 a[60+0:63+0], v[vgprValuB_X1_I0+2+0+0:vgprValuB_X1_I0+2+0+0+1], v[vgprValuA_X1_I0+14+0+0:vgprValuA_X1_I0+14+0+0+1], a[60:63]
/*  mfmaIndex:73  */
/* pack scheduling: packAIdx:16, packBIdx:4 */
v_or_b32 v[vgprValuB_X1_I0+6], v[vgprValuB_X1_I0+6], v[vgprValuB_X1_I0_D1+6] // pack two half Vgpr to one Vgpr
v_or_b32 v[vgprValuB_X1_I0+7], v[vgprValuB_X1_I0+7], v[vgprValuB_X1_I0_D1+7] // pack two half Vgpr to one Vgpr
v_mfma_f32_16x16x16_bf16 a[56+0:59+0], v[vgprValuB_X1_I0+2+0+0:vgprValuB_X1_I0+2+0+0+1], v[vgprValuA_X1_I0+12+0+0:vgprValuA_X1_I0+12+0+0+1], a[56:59]
/*  mfmaIndex:74  */
/* sched write - iter 1 writesPerItem=1 */
s_waitcnt vmcnt(0)                                 // lgkmcnt=-1 vmcnt=0wait for global read before writing to local
_ds_store_b128 v[vgprLocalWriteAddrB], v[vgprG2LB+12:vgprG2LB+12+3] offset:2368 // lwoB_1_0_1_0 = (1*LSCB) + (1*LSPB)(*MT1J+PAD) = 2368
/* pack scheduling: packAIdx:16, packBIdx:4 */
v_or_b32 v[vgprValuB_X1_I0+8], v[vgprValuB_X1_I0+8], v[vgprValuB_X1_I0_D1+8] // pack two half Vgpr to one Vgpr
v_or_b32 v[vgprValuB_X1_I0+9], v[vgprValuB_X1_I0+9], v[vgprValuB_X1_I0_D1+9] // pack two half Vgpr to one Vgpr
v_mfma_f32_16x16x16_bf16 a[52+0:55+0], v[vgprValuB_X1_I0+2+0+0:vgprValuB_X1_I0+2+0+0+1], v[vgprValuA_X1_I0+10+0+0:vgprValuA_X1_I0+10+0+0+1], a[52:55]
/*  mfmaIndex:75  */
_buffer_load_b128 v[vgprG2LB+12:vgprG2LB+12+3], v[vgprGlobalReadOffsetB+0], s[sgprSrdB:sgprSrdB+3], s[sgprScalarGlobalReadOffsetB+2], offen offset:0 // G -> Reg 1_0_1_0

/* local write swap offsets a */

/* local write swap offsets b */
/* pack scheduling: packAIdx:16, packBIdx:4 */
v_or_b32 v[vgprValuB_X1_I0+10], v[vgprValuB_X1_I0+10], v[vgprValuB_X1_I0_D1+10] // pack two half Vgpr to one Vgpr
v_or_b32 v[vgprValuB_X1_I0+11], v[vgprValuB_X1_I0+11], v[vgprValuB_X1_I0_D1+11] // pack two half Vgpr to one Vgpr
v_mfma_f32_16x16x16_bf16 a[48+0:51+0], v[vgprValuB_X1_I0+2+0+0:vgprValuB_X1_I0+2+0+0+1], v[vgprValuA_X1_I0+8+0+0:vgprValuA_X1_I0+8+0+0+1], a[48:51]
/*  mfmaIndex:76  */
/* pack scheduling: packAIdx:16, packBIdx:4 */
v_or_b32 v[vgprValuB_X1_I0+12], v[vgprValuB_X1_I0+12], v[vgprValuB_X1_I0_D1+12] // pack two half Vgpr to one Vgpr
v_or_b32 v[vgprValuB_X1_I0+13], v[vgprValuB_X1_I0+13], v[vgprValuB_X1_I0_D1+13] // pack two half Vgpr to one Vgpr
v_mfma_f32_16x16x16_bf16 a[44+0:47+0], v[vgprValuB_X1_I0+2+0+0:vgprValuB_X1_I0+2+0+0+1], v[vgprValuA_X1_I0+6+0+0:vgprValuA_X1_I0+6+0+0+1], a[44:47]
s_setprio 0                                        // store optimization
/*  mfmaIndex:77  */
s_waitcnt lgkmcnt(0)                               // lgkmcnt=0 vmcnt=-13wait for local write
// Skip force waitcnt0
s_barrier //
/* pack scheduling: packAIdx:16, packBIdx:4 */
v_or_b32 v[vgprValuB_X1_I0+14], v[vgprValuB_X1_I0+14], v[vgprValuB_X1_I0_D1+14] // pack two half Vgpr to one Vgpr
v_or_b32 v[vgprValuB_X1_I0+15], v[vgprValuB_X1_I0+15], v[vgprValuB_X1_I0_D1+15] // pack two half Vgpr to one Vgpr
v_mfma_f32_16x16x16_bf16 a[40+0:43+0], v[vgprValuB_X1_I0+2+0+0:vgprValuB_X1_I0+2+0+0+1], v[vgprValuA_X1_I0+4+0+0:vgprValuA_X1_I0+4+0+0+1], a[40:43]
/*  mfmaIndex:78  */
s_setprio 3                                        // store optimization
_ds_load_b32 v[vgprValuA_X0_I0_D0+0], v[vgprLocalReadAddrA] offset:0 // L -> Reg lro=0 swapByteOffset=0 ti=64 vIdx=0 rIdx=0 oIdx=0 buffer=0 iui=0
v_mfma_f32_16x16x16_bf16 a[36+0:39+0], v[vgprValuB_X1_I0+2+0+0:vgprValuB_X1_I0+2+0+0+1], v[vgprValuA_X1_I0+2+0+0:vgprValuA_X1_I0+2+0+0+1], a[36:39]
/*  mfmaIndex:79  */
_ds_load_b32 v[vgprValuA_X0_I0_D1+0], v[vgprLocalReadAddrA] offset:512 // L -> Reg lro=0 swapByteOffset=0 ti=64 vIdx=0 rIdx=1 oIdx=0 buffer=0 iui=0
v_mfma_f32_16x16x16_bf16 a[32+0:35+0], v[vgprValuB_X1_I0+2+0+0:vgprValuB_X1_I0+2+0+0+1], v[vgprValuA_X1_I0+0+0+0:vgprValuA_X1_I0+0+0+0+1], a[32:35]
/*  mfmaIndex:80  */
_ds_load_b32 v[vgprValuA_X0_I0_D2+0], v[vgprLocalReadAddrA] offset:1024 // L -> Reg lro=0 swapByteOffset=0 ti=64 vIdx=0 rIdx=2 oIdx=0 buffer=0 iui=0
v_mfma_f32_16x16x16_bf16 a[64+0:67+0], v[vgprValuB_X1_I0+4+0+0:vgprValuB_X1_I0+4+0+0+1], v[vgprValuA_X1_I0+0+0+0:vgprValuA_X1_I0+0+0+0+1], a[64:67]
/*  mfmaIndex:81  */
_ds_load_b32 v[vgprValuA_X0_I0_D3+0], v[vgprLocalReadAddrA] offset:1536 // L -> Reg lro=0 swapByteOffset=0 ti=64 vIdx=0 rIdx=3 oIdx=0 buffer=0 iui=0
v_mfma_f32_16x16x16_bf16 a[68+0:71+0], v[vgprValuB_X1_I0+4+0+0:vgprValuB_X1_I0+4+0+0+1], v[vgprValuA_X1_I0+2+0+0:vgprValuA_X1_I0+2+0+0+1], a[68:71]
/*  mfmaIndex:82  */
_ds_load_u16 v[vgprValuB_X0_I0+0], v[vgprLocalReadAddrB] offset:0 // L -> Reg lro=0 swapByteOffset=0 ti=32 vIdx=0 rIdx=0 oIdx=0 buffer=0 iui=0
v_mfma_f32_16x16x16_bf16 a[72+0:75+0], v[vgprValuB_X1_I0+4+0+0:vgprValuB_X1_I0+4+0+0+1], v[vgprValuA_X1_I0+4+0+0:vgprValuA_X1_I0+4+0+0+1], a[72:75]
/*  mfmaIndex:83  */
_ds_load_u16_d16_hi v[vgprValuB_X0_I0_D1+0], v[vgprLocalReadAddrB] offset:512 // L -> Reg lro=0 swapByteOffset=0 ti=32 vIdx=0 rIdx=1 oIdx=0 buffer=0 iui=0
v_mfma_f32_16x16x16_bf16 a[76+0:79+0], v[vgprValuB_X1_I0+4+0+0:vgprValuB_X1_I0+4+0+0+1], v[vgprValuA_X1_I0+6+0+0:vgprValuA_X1_I0+6+0+0+1], a[76:79]
/*  mfmaIndex:84  */
_ds_load_u16 v[vgprValuB_X0_I0+1], v[vgprLocalReadAddrB] offset:1024 // L -> Reg lro=0 swapByteOffset=0 ti=32 vIdx=0 rIdx=2 oIdx=0 buffer=0 iui=0
v_mfma_f32_16x16x16_bf16 a[80+0:83+0], v[vgprValuB_X1_I0+4+0+0:vgprValuB_X1_I0+4+0+0+1], v[vgprValuA_X1_I0+8+0+0:vgprValuA_X1_I0+8+0+0+1], a[80:83]
/*  mfmaIndex:85  */
_ds_load_u16_d16_hi v[vgprValuB_X0_I0_D1+1], v[vgprLocalReadAddrB] offset:1536 // L -> Reg lro=0 swapByteOffset=0 ti=32 vIdx=0 rIdx=3 oIdx=0 buffer=0 iui=0
v_mfma_f32_16x16x16_bf16 a[84+0:87+0], v[vgprValuB_X1_I0+4+0+0:vgprValuB_X1_I0+4+0+0+1], v[vgprValuA_X1_I0+10+0+0:vgprValuA_X1_I0+10+0+0+1], a[84:87]
/*  mfmaIndex:86  */
_ds_load_b32 v[vgprValuA_X0_I0_D0+1], v[vgprLocalReadAddrA] offset:128 // L -> Reg lro=0 swapByteOffset=0 ti=64 vIdx=1 rIdx=0 oIdx=0 buffer=0 iui=0
v_mfma_f32_16x16x16_bf16 a[88+0:91+0], v[vgprValuB_X1_I0+4+0+0:vgprValuB_X1_I0+4+0+0+1], v[vgprValuA_X1_I0+12+0+0:vgprValuA_X1_I0+12+0+0+1], a[88:91]
/*  mfmaIndex:87  */
_ds_load_b32 v[vgprValuA_X0_I0_D1+1], v[vgprLocalReadAddrA] offset:640 // L -> Reg lro=0 swapByteOffset=0 ti=64 vIdx=1 rIdx=1 oIdx=0 buffer=0 iui=0
v_mfma_f32_16x16x16_bf16 a[92+0:95+0], v[vgprValuB_X1_I0+4+0+0:vgprValuB_X1_I0+4+0+0+1], v[vgprValuA_X1_I0+14+0+0:vgprValuA_X1_I0+14+0+0+1], a[92:95]
/*  mfmaIndex:88  */
_ds_load_b32 v[vgprValuA_X0_I0_D2+1], v[vgprLocalReadAddrA] offset:1152 // L -> Reg lro=0 swapByteOffset=0 ti=64 vIdx=1 rIdx=2 oIdx=0 buffer=0 iui=0
v_mfma_f32_16x16x16_bf16 a[124+0:127+0], v[vgprValuB_X1_I0+6+0+0:vgprValuB_X1_I0+6+0+0+1], v[vgprValuA_X1_I0+14+0+0:vgprValuA_X1_I0+14+0+0+1], a[124:127]
/*  mfmaIndex:89  */
_ds_load_b32 v[vgprValuA_X0_I0_D3+1], v[vgprLocalReadAddrA] offset:1664 // L -> Reg lro=0 swapByteOffset=0 ti=64 vIdx=1 rIdx=3 oIdx=0 buffer=0 iui=0
v_mfma_f32_16x16x16_bf16 a[120+0:123+0], v[vgprValuB_X1_I0+6+0+0:vgprValuB_X1_I0+6+0+0+1], v[vgprValuA_X1_I0+12+0+0:vgprValuA_X1_I0+12+0+0+1], a[120:123]
/*  mfmaIndex:90  */
_ds_load_b32 v[vgprValuA_X0_I0_D0+2], v[vgprLocalReadAddrA] offset:256 // L -> Reg lro=0 swapByteOffset=0 ti=64 vIdx=2 rIdx=0 oIdx=0 buffer=0 iui=0
v_mfma_f32_16x16x16_bf16 a[116+0:119+0], v[vgprValuB_X1_I0+6+0+0:vgprValuB_X1_I0+6+0+0+1], v[vgprValuA_X1_I0+10+0+0:vgprValuA_X1_I0+10+0+0+1], a[116:119]
/*  mfmaIndex:91  */
_ds_load_b32 v[vgprValuA_X0_I0_D1+2], v[vgprLocalReadAddrA] offset:768 // L -> Reg lro=0 swapByteOffset=0 ti=64 vIdx=2 rIdx=1 oIdx=0 buffer=0 iui=0
v_mfma_f32_16x16x16_bf16 a[112+0:115+0], v[vgprValuB_X1_I0+6+0+0:vgprValuB_X1_I0+6+0+0+1], v[vgprValuA_X1_I0+8+0+0:vgprValuA_X1_I0+8+0+0+1], a[112:115]
/*  mfmaIndex:92  */
_ds_load_b32 v[vgprValuA_X0_I0_D2+2], v[vgprLocalReadAddrA] offset:1280 // L -> Reg lro=0 swapByteOffset=0 ti=64 vIdx=2 rIdx=2 oIdx=0 buffer=0 iui=0
v_mfma_f32_16x16x16_bf16 a[108+0:111+0], v[vgprValuB_X1_I0+6+0+0:vgprValuB_X1_I0+6+0+0+1], v[vgprValuA_X1_I0+6+0+0:vgprValuA_X1_I0+6+0+0+1], a[108:111]
/*  mfmaIndex:93  */
_ds_load_b32 v[vgprValuA_X0_I0_D3+2], v[vgprLocalReadAddrA] offset:1792 // L -> Reg lro=0 swapByteOffset=0 ti=64 vIdx=2 rIdx=3 oIdx=0 buffer=0 iui=0
	;; [unrolled: 12-line block ×3, first 2 shown]
v_mfma_f32_16x16x16_bf16 a[132+0:135+0], v[vgprValuB_X1_I0+8+0+0:vgprValuB_X1_I0+8+0+0+1], v[vgprValuA_X1_I0+2+0+0:vgprValuA_X1_I0+2+0+0+1], a[132:135]
/*  mfmaIndex:98  */
_ds_load_u16 v[vgprValuB_X0_I0+2], v[vgprLocalReadAddrB] offset:64 // L -> Reg lro=0 swapByteOffset=0 ti=32 vIdx=1 rIdx=0 oIdx=0 buffer=0 iui=0
v_mfma_f32_16x16x16_bf16 a[136+0:139+0], v[vgprValuB_X1_I0+8+0+0:vgprValuB_X1_I0+8+0+0+1], v[vgprValuA_X1_I0+4+0+0:vgprValuA_X1_I0+4+0+0+1], a[136:139]
/*  mfmaIndex:99  */
_ds_load_u16_d16_hi v[vgprValuB_X0_I0_D1+2], v[vgprLocalReadAddrB] offset:576 // L -> Reg lro=0 swapByteOffset=0 ti=32 vIdx=1 rIdx=1 oIdx=0 buffer=0 iui=0
v_mfma_f32_16x16x16_bf16 a[140+0:143+0], v[vgprValuB_X1_I0+8+0+0:vgprValuB_X1_I0+8+0+0+1], v[vgprValuA_X1_I0+6+0+0:vgprValuA_X1_I0+6+0+0+1], a[140:143]
/*  mfmaIndex:100  */
_ds_load_u16 v[vgprValuB_X0_I0+3], v[vgprLocalReadAddrB] offset:1088 // L -> Reg lro=0 swapByteOffset=0 ti=32 vIdx=1 rIdx=2 oIdx=0 buffer=0 iui=0
v_mfma_f32_16x16x16_bf16 a[144+0:147+0], v[vgprValuB_X1_I0+8+0+0:vgprValuB_X1_I0+8+0+0+1], v[vgprValuA_X1_I0+8+0+0:vgprValuA_X1_I0+8+0+0+1], a[144:147]
/*  mfmaIndex:101  */
_ds_load_u16_d16_hi v[vgprValuB_X0_I0_D1+3], v[vgprLocalReadAddrB] offset:1600 // L -> Reg lro=0 swapByteOffset=0 ti=32 vIdx=1 rIdx=3 oIdx=0 buffer=0 iui=0
	;; [unrolled: 6-line block ×14, first 2 shown]
v_mfma_f32_16x16x16_bf16 a[232+0:235+0], v[vgprValuB_X1_I0+14+0+0:vgprValuB_X1_I0+14+0+0+1], v[vgprValuA_X1_I0+4+0+0:vgprValuA_X1_I0+4+0+0+1], a[232:235]
/*  mfmaIndex:126  */
v_mfma_f32_16x16x16_bf16 a[228+0:231+0], v[vgprValuB_X1_I0+14+0+0:vgprValuB_X1_I0+14+0+0+1], v[vgprValuA_X1_I0+2+0+0:vgprValuA_X1_I0+2+0+0+1], a[228:231]
/*  mfmaIndex:127  */
v_mfma_f32_16x16x16_bf16 a[224+0:227+0], v[vgprValuB_X1_I0+14+0+0:vgprValuB_X1_I0+14+0+0+1], v[vgprValuA_X1_I0+0+0+0:vgprValuA_X1_I0+0+0+0+1], a[224:227]
s_setprio 0                                        // store optimization


/******************************************/
/* Unrolled Loop - End 2/2 (final)        */
/******************************************/


/* closeLoop loopL finalLoop=1 tailLoop=0 */
s_sub_u32 s[sgprLoopCounterL], s[sgprLoopCounterL], 2 // dec counterL
s_cmp_eq_i32 s[sgprLoopCounterL], 0x2              // counterL==2
s_cbranch_scc0 LoopBeginL_1                        // restart LoopL
LoopEndL_evenexit_4: // unroll loop eveniter exit
s_branch LoopEndL_2                                // exit unroll loopL (and skip second exit code)
LoopEndL_oddexit_3: // unroll loop odditer exit

/* Select high bank of LDS */
LoopEndL_2:


/* Before NLL: Check VGPR.checkin for INT8 LW */


/******************************************/
/* Ord. NoGlobalLoadLoop - Begin                                      */
/******************************************/


	;; [unrolled: 1-line block ×3, first 2 shown]
/* iter 0 (reset local read pointers iteration)  (swap local read pointers iteration)  */

/*  grEndMfmaIndex:12, lwStartMfmaIndex:52, lwEndMfmaIndex:75  */
/*  numMfmaForLR:50, barrierMfmaIndex:77, LocalWritePerMfma:0.310 */
/*  mfmaIndex:0  */
s_waitcnt lgkmcnt(0)                               // lgkmcnt=0 vmcnt=-1wait for prior local read local write old=0, new=0 newLW=0 newLR=0
/* pack scheduling: packAIdx:2, packBIdx:2 */
v_perm_b32 v[vgprValuA_X0_I0+0], v[vgprValuA_X0_I0_D1+0], v[vgprValuA_X0_I0_D0+0], s[sgprPackKForV0] // select K=01 for vector=0
v_perm_b32 v[vgprValuA_X0_I0+1], v[vgprValuA_X0_I0_D3+0], v[vgprValuA_X0_I0_D2+0], s[sgprPackKForV0] // select K=23 for vector=0
v_or_b32 v[vgprValuB_X0_I0+0], v[vgprValuB_X0_I0+0], v[vgprValuB_X0_I0_D1+0] // pack two half Vgpr to one Vgpr
v_or_b32 v[vgprValuB_X0_I0+1], v[vgprValuB_X0_I0+1], v[vgprValuB_X0_I0_D1+1] // pack two half Vgpr to one Vgpr
v_perm_b32 v[vgprValuA_X0_I0+2], v[vgprValuA_X0_I0_D1+0], v[vgprValuA_X0_I0_D0+0], s[sgprPackKForV1] // select K=01 for vector=1
v_perm_b32 v[vgprValuA_X0_I0+3], v[vgprValuA_X0_I0_D3+0], v[vgprValuA_X0_I0_D2+0], s[sgprPackKForV1] // select K=23 for vector=1
v_mfma_f32_16x16x16_bf16 a[0+0:3+0], v[vgprValuB_X0_I0+0+0+0:vgprValuB_X0_I0+0+0+0+1], v[vgprValuA_X0_I0+0+0+0:vgprValuA_X0_I0+0+0+0+1], a[0:3]
/*  mfmaIndex:1  */
_ds_load_b32 v[vgprValuA_X1_I0_D0+0], v[vgprLocalReadAddrA] offset:8192 // L -> Reg lro=4096 swapByteOffset=0 ti=64 vIdx=0 rIdx=0 oIdx=0 buffer=1 iui=0

/* global read inc A loopL */
s_add_u32 s[sgprSrdA+0], s[sgprSrdA+0], s[sgprGlobalReadIncsA+0] // gra SRD += inc(lower)
/* pack scheduling: packAIdx:4, packBIdx:2 */
v_perm_b32 v[vgprValuA_X0_I0+4], v[vgprValuA_X0_I0_D1+1], v[vgprValuA_X0_I0_D0+1], s[sgprPackKForV0] // select K=01 for vector=0
v_perm_b32 v[vgprValuA_X0_I0+5], v[vgprValuA_X0_I0_D3+1], v[vgprValuA_X0_I0_D2+1], s[sgprPackKForV0] // select K=23 for vector=0
v_mfma_f32_16x16x16_bf16 a[4+0:7+0], v[vgprValuB_X0_I0+0+0+0:vgprValuB_X0_I0+0+0+0+1], v[vgprValuA_X0_I0+2+0+0:vgprValuA_X0_I0+2+0+0+1], a[4:7]
/*  mfmaIndex:2  */
_ds_load_b32 v[vgprValuA_X1_I0_D1+0], v[vgprLocalReadAddrA] offset:8704 // L -> Reg lro=4096 swapByteOffset=0 ti=64 vIdx=0 rIdx=1 oIdx=0 buffer=1 iui=0
s_addc_u32  s[sgprSrdA+1], s[sgprSrdA+1], 0        // gra SRD += inc(upper)
/* pack scheduling: packAIdx:6, packBIdx:2 */
v_perm_b32 v[vgprValuA_X0_I0+6], v[vgprValuA_X0_I0_D1+1], v[vgprValuA_X0_I0_D0+1], s[sgprPackKForV1] // select K=01 for vector=1
v_perm_b32 v[vgprValuA_X0_I0+7], v[vgprValuA_X0_I0_D3+1], v[vgprValuA_X0_I0_D2+1], s[sgprPackKForV1] // select K=23 for vector=1
v_mfma_f32_16x16x16_bf16 a[8+0:11+0], v[vgprValuB_X0_I0+0+0+0:vgprValuB_X0_I0+0+0+0+1], v[vgprValuA_X0_I0+4+0+0:vgprValuA_X0_I0+4+0+0+1], a[8:11]
/*  mfmaIndex:3  */
_ds_load_b32 v[vgprValuA_X1_I0_D2+0], v[vgprLocalReadAddrA] offset:9216 // L -> Reg lro=4096 swapByteOffset=0 ti=64 vIdx=0 rIdx=2 oIdx=0 buffer=1 iui=0
s_sub_u32 s[sgprShadowLimitA+0], s[sgprShadowLimitA+0], s[sgprGlobalReadIncsA+0] // limit -= inc)
/* pack scheduling: packAIdx:8, packBIdx:2 */
v_perm_b32 v[vgprValuA_X0_I0+8], v[vgprValuA_X0_I0_D1+2], v[vgprValuA_X0_I0_D0+2], s[sgprPackKForV0] // select K=01 for vector=0
v_perm_b32 v[vgprValuA_X0_I0+9], v[vgprValuA_X0_I0_D3+2], v[vgprValuA_X0_I0_D2+2], s[sgprPackKForV0] // select K=23 for vector=0
v_mfma_f32_16x16x16_bf16 a[12+0:15+0], v[vgprValuB_X0_I0+0+0+0:vgprValuB_X0_I0+0+0+0+1], v[vgprValuA_X0_I0+6+0+0:vgprValuA_X0_I0+6+0+0+1], a[12:15]
/*  mfmaIndex:4  */
_ds_load_b32 v[vgprValuA_X1_I0_D3+0], v[vgprLocalReadAddrA] offset:9728 // L -> Reg lro=4096 swapByteOffset=0 ti=64 vIdx=0 rIdx=3 oIdx=0 buffer=1 iui=0
s_subb_u32 s[sgprShadowLimitA+1], s[sgprShadowLimitA+1], 0 // limit -= inc)
/* pack scheduling: packAIdx:10, packBIdx:2 */
v_perm_b32 v[vgprValuA_X0_I0+10], v[vgprValuA_X0_I0_D1+2], v[vgprValuA_X0_I0_D0+2], s[sgprPackKForV1] // select K=01 for vector=1
v_perm_b32 v[vgprValuA_X0_I0+11], v[vgprValuA_X0_I0_D3+2], v[vgprValuA_X0_I0_D2+2], s[sgprPackKForV1] // select K=23 for vector=1
v_mfma_f32_16x16x16_bf16 a[16+0:19+0], v[vgprValuB_X0_I0+0+0+0:vgprValuB_X0_I0+0+0+0+1], v[vgprValuA_X0_I0+8+0+0:vgprValuA_X0_I0+8+0+0+1], a[16:19]
/*  mfmaIndex:5  */
_ds_load_u16 v[vgprValuB_X1_I0+0], v[vgprLocalReadAddrB] offset:8448 // L -> Reg lro=4096 swapByteOffset=0 ti=32 vIdx=0 rIdx=0 oIdx=0 buffer=1 iui=0
s_cmp_eq_u32 s[sgprShadowLimitA+1], 0              // are we within 2^32?
/* pack scheduling: packAIdx:12, packBIdx:2 */
v_perm_b32 v[vgprValuA_X0_I0+12], v[vgprValuA_X0_I0_D1+3], v[vgprValuA_X0_I0_D0+3], s[sgprPackKForV0] // select K=01 for vector=0
v_perm_b32 v[vgprValuA_X0_I0+13], v[vgprValuA_X0_I0_D3+3], v[vgprValuA_X0_I0_D2+3], s[sgprPackKForV0] // select K=23 for vector=0
v_mfma_f32_16x16x16_bf16 a[20+0:23+0], v[vgprValuB_X0_I0+0+0+0:vgprValuB_X0_I0+0+0+0+1], v[vgprValuA_X0_I0+10+0+0:vgprValuA_X0_I0+10+0+0+1], a[20:23]
/*  mfmaIndex:6  */
_ds_load_u16_d16_hi v[vgprValuB_X1_I0_D1+0], v[vgprLocalReadAddrB] offset:8960 // L -> Reg lro=4096 swapByteOffset=0 ti=32 vIdx=0 rIdx=1 oIdx=0 buffer=1 iui=0
s_cmov_b32 s[sgprSrdA+2], s[sgprShadowLimitA+0]    // Move shadow to real if we are within 2^32
/* pack scheduling: packAIdx:14, packBIdx:2 */
v_perm_b32 v[vgprValuA_X0_I0+14], v[vgprValuA_X0_I0_D1+3], v[vgprValuA_X0_I0_D0+3], s[sgprPackKForV1] // select K=01 for vector=1
v_perm_b32 v[vgprValuA_X0_I0+15], v[vgprValuA_X0_I0_D3+3], v[vgprValuA_X0_I0_D2+3], s[sgprPackKForV1] // select K=23 for vector=1
v_mfma_f32_16x16x16_bf16 a[24+0:27+0], v[vgprValuB_X0_I0+0+0+0:vgprValuB_X0_I0+0+0+0+1], v[vgprValuA_X0_I0+12+0+0:vgprValuA_X0_I0+12+0+0+1], a[24:27]
/*  mfmaIndex:7  */
_ds_load_u16 v[vgprValuB_X1_I0+1], v[vgprLocalReadAddrB] offset:9472 // L -> Reg lro=4096 swapByteOffset=0 ti=32 vIdx=0 rIdx=2 oIdx=0 buffer=1 iui=0

/* global read inc B loopL */
s_add_u32 s[sgprSrdB+0], s[sgprSrdB+0], s[sgprGlobalReadIncsB+0] // gra SRD += inc(lower)
/* pack scheduling: packAIdx:16, packBIdx:2 */
v_or_b32 v[vgprValuB_X0_I0+2], v[vgprValuB_X0_I0+2], v[vgprValuB_X0_I0_D1+2] // pack two half Vgpr to one Vgpr
v_or_b32 v[vgprValuB_X0_I0+3], v[vgprValuB_X0_I0+3], v[vgprValuB_X0_I0_D1+3] // pack two half Vgpr to one Vgpr
v_mfma_f32_16x16x16_bf16 a[28+0:31+0], v[vgprValuB_X0_I0+0+0+0:vgprValuB_X0_I0+0+0+0+1], v[vgprValuA_X0_I0+14+0+0:vgprValuA_X0_I0+14+0+0+1], a[28:31]
/*  mfmaIndex:8  */
_ds_load_u16_d16_hi v[vgprValuB_X1_I0_D1+1], v[vgprLocalReadAddrB] offset:9984 // L -> Reg lro=4096 swapByteOffset=0 ti=32 vIdx=0 rIdx=3 oIdx=0 buffer=1 iui=0
s_addc_u32  s[sgprSrdB+1], s[sgprSrdB+1], 0        // gra SRD += inc(upper)
/* pack scheduling: packAIdx:16, packBIdx:4 */
v_or_b32 v[vgprValuB_X0_I0+4], v[vgprValuB_X0_I0+4], v[vgprValuB_X0_I0_D1+4] // pack two half Vgpr to one Vgpr
v_or_b32 v[vgprValuB_X0_I0+5], v[vgprValuB_X0_I0+5], v[vgprValuB_X0_I0_D1+5] // pack two half Vgpr to one Vgpr
v_mfma_f32_16x16x16_bf16 a[60+0:63+0], v[vgprValuB_X0_I0+2+0+0:vgprValuB_X0_I0+2+0+0+1], v[vgprValuA_X0_I0+14+0+0:vgprValuA_X0_I0+14+0+0+1], a[60:63]
/*  mfmaIndex:9  */
_ds_load_b32 v[vgprValuA_X1_I0_D0+1], v[vgprLocalReadAddrA] offset:8320 // L -> Reg lro=4096 swapByteOffset=0 ti=64 vIdx=1 rIdx=0 oIdx=0 buffer=1 iui=0
s_sub_u32 s[sgprShadowLimitB+0], s[sgprShadowLimitB+0], s[sgprGlobalReadIncsB+0] // limit -= inc)
/* pack scheduling: packAIdx:16, packBIdx:4 */
v_or_b32 v[vgprValuB_X0_I0+6], v[vgprValuB_X0_I0+6], v[vgprValuB_X0_I0_D1+6] // pack two half Vgpr to one Vgpr
v_or_b32 v[vgprValuB_X0_I0+7], v[vgprValuB_X0_I0+7], v[vgprValuB_X0_I0_D1+7] // pack two half Vgpr to one Vgpr
v_mfma_f32_16x16x16_bf16 a[56+0:59+0], v[vgprValuB_X0_I0+2+0+0:vgprValuB_X0_I0+2+0+0+1], v[vgprValuA_X0_I0+12+0+0:vgprValuA_X0_I0+12+0+0+1], a[56:59]
/*  mfmaIndex:10  */
_ds_load_b32 v[vgprValuA_X1_I0_D1+1], v[vgprLocalReadAddrA] offset:8832 // L -> Reg lro=4096 swapByteOffset=0 ti=64 vIdx=1 rIdx=1 oIdx=0 buffer=1 iui=0
s_subb_u32 s[sgprShadowLimitB+1], s[sgprShadowLimitB+1], 0 // limit -= inc)
/* pack scheduling: packAIdx:16, packBIdx:4 */
v_or_b32 v[vgprValuB_X0_I0+8], v[vgprValuB_X0_I0+8], v[vgprValuB_X0_I0_D1+8] // pack two half Vgpr to one Vgpr
v_or_b32 v[vgprValuB_X0_I0+9], v[vgprValuB_X0_I0+9], v[vgprValuB_X0_I0_D1+9] // pack two half Vgpr to one Vgpr
v_mfma_f32_16x16x16_bf16 a[52+0:55+0], v[vgprValuB_X0_I0+2+0+0:vgprValuB_X0_I0+2+0+0+1], v[vgprValuA_X0_I0+10+0+0:vgprValuA_X0_I0+10+0+0+1], a[52:55]
/*  mfmaIndex:11  */
_ds_load_b32 v[vgprValuA_X1_I0_D2+1], v[vgprLocalReadAddrA] offset:9344 // L -> Reg lro=4096 swapByteOffset=0 ti=64 vIdx=1 rIdx=2 oIdx=0 buffer=1 iui=0
s_cmp_eq_u32 s[sgprShadowLimitB+1], 0              // are we within 2^32?
/* pack scheduling: packAIdx:16, packBIdx:4 */
v_or_b32 v[vgprValuB_X0_I0+10], v[vgprValuB_X0_I0+10], v[vgprValuB_X0_I0_D1+10] // pack two half Vgpr to one Vgpr
v_or_b32 v[vgprValuB_X0_I0+11], v[vgprValuB_X0_I0+11], v[vgprValuB_X0_I0_D1+11] // pack two half Vgpr to one Vgpr
v_mfma_f32_16x16x16_bf16 a[48+0:51+0], v[vgprValuB_X0_I0+2+0+0:vgprValuB_X0_I0+2+0+0+1], v[vgprValuA_X0_I0+8+0+0:vgprValuA_X0_I0+8+0+0+1], a[48:51]
/*  mfmaIndex:12  */
_ds_load_b32 v[vgprValuA_X1_I0_D3+1], v[vgprLocalReadAddrA] offset:9856 // L -> Reg lro=4096 swapByteOffset=0 ti=64 vIdx=1 rIdx=3 oIdx=0 buffer=1 iui=0
s_cmov_b32 s[sgprSrdB+2], s[sgprShadowLimitB+0]    // Move shadow to real if we are within 2^32
/* pack scheduling: packAIdx:16, packBIdx:4 */
v_or_b32 v[vgprValuB_X0_I0+12], v[vgprValuB_X0_I0+12], v[vgprValuB_X0_I0_D1+12] // pack two half Vgpr to one Vgpr
v_or_b32 v[vgprValuB_X0_I0+13], v[vgprValuB_X0_I0+13], v[vgprValuB_X0_I0_D1+13] // pack two half Vgpr to one Vgpr
v_mfma_f32_16x16x16_bf16 a[44+0:47+0], v[vgprValuB_X0_I0+2+0+0:vgprValuB_X0_I0+2+0+0+1], v[vgprValuA_X0_I0+6+0+0:vgprValuA_X0_I0+6+0+0+1], a[44:47]
/*  mfmaIndex:13  */
_ds_load_b32 v[vgprValuA_X1_I0_D0+2], v[vgprLocalReadAddrA] offset:8448 // L -> Reg lro=4096 swapByteOffset=0 ti=64 vIdx=2 rIdx=0 oIdx=0 buffer=1 iui=0
/* pack scheduling: packAIdx:16, packBIdx:4 */
v_or_b32 v[vgprValuB_X0_I0+14], v[vgprValuB_X0_I0+14], v[vgprValuB_X0_I0_D1+14] // pack two half Vgpr to one Vgpr
v_or_b32 v[vgprValuB_X0_I0+15], v[vgprValuB_X0_I0+15], v[vgprValuB_X0_I0_D1+15] // pack two half Vgpr to one Vgpr
v_mfma_f32_16x16x16_bf16 a[40+0:43+0], v[vgprValuB_X0_I0+2+0+0:vgprValuB_X0_I0+2+0+0+1], v[vgprValuA_X0_I0+4+0+0:vgprValuA_X0_I0+4+0+0+1], a[40:43]
/*  mfmaIndex:14  */
_ds_load_b32 v[vgprValuA_X1_I0_D1+2], v[vgprLocalReadAddrA] offset:8960 // L -> Reg lro=4096 swapByteOffset=0 ti=64 vIdx=2 rIdx=1 oIdx=0 buffer=1 iui=0
v_mfma_f32_16x16x16_bf16 a[36+0:39+0], v[vgprValuB_X0_I0+2+0+0:vgprValuB_X0_I0+2+0+0+1], v[vgprValuA_X0_I0+2+0+0:vgprValuA_X0_I0+2+0+0+1], a[36:39]
/*  mfmaIndex:15  */
_ds_load_b32 v[vgprValuA_X1_I0_D2+2], v[vgprLocalReadAddrA] offset:9472 // L -> Reg lro=4096 swapByteOffset=0 ti=64 vIdx=2 rIdx=2 oIdx=0 buffer=1 iui=0
v_mfma_f32_16x16x16_bf16 a[32+0:35+0], v[vgprValuB_X0_I0+2+0+0:vgprValuB_X0_I0+2+0+0+1], v[vgprValuA_X0_I0+0+0+0:vgprValuA_X0_I0+0+0+0+1], a[32:35]
/*  mfmaIndex:16  */
_ds_load_b32 v[vgprValuA_X1_I0_D3+2], v[vgprLocalReadAddrA] offset:9984 // L -> Reg lro=4096 swapByteOffset=0 ti=64 vIdx=2 rIdx=3 oIdx=0 buffer=1 iui=0
v_mfma_f32_16x16x16_bf16 a[64+0:67+0], v[vgprValuB_X0_I0+4+0+0:vgprValuB_X0_I0+4+0+0+1], v[vgprValuA_X0_I0+0+0+0:vgprValuA_X0_I0+0+0+0+1], a[64:67]
/*  mfmaIndex:17  */
_ds_load_b32 v[vgprValuA_X1_I0_D0+3], v[vgprLocalReadAddrA] offset:8576 // L -> Reg lro=4096 swapByteOffset=0 ti=64 vIdx=3 rIdx=0 oIdx=0 buffer=1 iui=0
v_mfma_f32_16x16x16_bf16 a[68+0:71+0], v[vgprValuB_X0_I0+4+0+0:vgprValuB_X0_I0+4+0+0+1], v[vgprValuA_X0_I0+2+0+0:vgprValuA_X0_I0+2+0+0+1], a[68:71]
/*  mfmaIndex:18  */
_ds_load_b32 v[vgprValuA_X1_I0_D1+3], v[vgprLocalReadAddrA] offset:9088 // L -> Reg lro=4096 swapByteOffset=0 ti=64 vIdx=3 rIdx=1 oIdx=0 buffer=1 iui=0
v_mfma_f32_16x16x16_bf16 a[72+0:75+0], v[vgprValuB_X0_I0+4+0+0:vgprValuB_X0_I0+4+0+0+1], v[vgprValuA_X0_I0+4+0+0:vgprValuA_X0_I0+4+0+0+1], a[72:75]
/*  mfmaIndex:19  */
_ds_load_b32 v[vgprValuA_X1_I0_D2+3], v[vgprLocalReadAddrA] offset:9600 // L -> Reg lro=4096 swapByteOffset=0 ti=64 vIdx=3 rIdx=2 oIdx=0 buffer=1 iui=0
v_mfma_f32_16x16x16_bf16 a[76+0:79+0], v[vgprValuB_X0_I0+4+0+0:vgprValuB_X0_I0+4+0+0+1], v[vgprValuA_X0_I0+6+0+0:vgprValuA_X0_I0+6+0+0+1], a[76:79]
/*  mfmaIndex:20  */
_ds_load_b32 v[vgprValuA_X1_I0_D3+3], v[vgprLocalReadAddrA] offset:10112 // L -> Reg lro=4096 swapByteOffset=0 ti=64 vIdx=3 rIdx=3 oIdx=0 buffer=1 iui=0
v_mfma_f32_16x16x16_bf16 a[80+0:83+0], v[vgprValuB_X0_I0+4+0+0:vgprValuB_X0_I0+4+0+0+1], v[vgprValuA_X0_I0+8+0+0:vgprValuA_X0_I0+8+0+0+1], a[80:83]
/*  mfmaIndex:21  */
_ds_load_u16 v[vgprValuB_X1_I0+2], v[vgprLocalReadAddrB] offset:8512 // L -> Reg lro=4096 swapByteOffset=0 ti=32 vIdx=1 rIdx=0 oIdx=0 buffer=1 iui=0
v_mfma_f32_16x16x16_bf16 a[84+0:87+0], v[vgprValuB_X0_I0+4+0+0:vgprValuB_X0_I0+4+0+0+1], v[vgprValuA_X0_I0+10+0+0:vgprValuA_X0_I0+10+0+0+1], a[84:87]
/*  mfmaIndex:22  */
_ds_load_u16_d16_hi v[vgprValuB_X1_I0_D1+2], v[vgprLocalReadAddrB] offset:9024 // L -> Reg lro=4096 swapByteOffset=0 ti=32 vIdx=1 rIdx=1 oIdx=0 buffer=1 iui=0
v_mfma_f32_16x16x16_bf16 a[88+0:91+0], v[vgprValuB_X0_I0+4+0+0:vgprValuB_X0_I0+4+0+0+1], v[vgprValuA_X0_I0+12+0+0:vgprValuA_X0_I0+12+0+0+1], a[88:91]
/*  mfmaIndex:23  */
_ds_load_u16 v[vgprValuB_X1_I0+3], v[vgprLocalReadAddrB] offset:9536 // L -> Reg lro=4096 swapByteOffset=0 ti=32 vIdx=1 rIdx=2 oIdx=0 buffer=1 iui=0
v_mfma_f32_16x16x16_bf16 a[92+0:95+0], v[vgprValuB_X0_I0+4+0+0:vgprValuB_X0_I0+4+0+0+1], v[vgprValuA_X0_I0+14+0+0:vgprValuA_X0_I0+14+0+0+1], a[92:95]
/*  mfmaIndex:24  */
_ds_load_u16_d16_hi v[vgprValuB_X1_I0_D1+3], v[vgprLocalReadAddrB] offset:10048 // L -> Reg lro=4096 swapByteOffset=0 ti=32 vIdx=1 rIdx=3 oIdx=0 buffer=1 iui=0
v_mfma_f32_16x16x16_bf16 a[124+0:127+0], v[vgprValuB_X0_I0+6+0+0:vgprValuB_X0_I0+6+0+0+1], v[vgprValuA_X0_I0+14+0+0:vgprValuA_X0_I0+14+0+0+1], a[124:127]
/*  mfmaIndex:25  */
_ds_load_u16 v[vgprValuB_X1_I0+4], v[vgprLocalReadAddrB] offset:8576 // L -> Reg lro=4096 swapByteOffset=0 ti=32 vIdx=2 rIdx=0 oIdx=0 buffer=1 iui=0
v_mfma_f32_16x16x16_bf16 a[120+0:123+0], v[vgprValuB_X0_I0+6+0+0:vgprValuB_X0_I0+6+0+0+1], v[vgprValuA_X0_I0+12+0+0:vgprValuA_X0_I0+12+0+0+1], a[120:123]
/*  mfmaIndex:26  */
_ds_load_u16_d16_hi v[vgprValuB_X1_I0_D1+4], v[vgprLocalReadAddrB] offset:9088 // L -> Reg lro=4096 swapByteOffset=0 ti=32 vIdx=2 rIdx=1 oIdx=0 buffer=1 iui=0
v_mfma_f32_16x16x16_bf16 a[116+0:119+0], v[vgprValuB_X0_I0+6+0+0:vgprValuB_X0_I0+6+0+0+1], v[vgprValuA_X0_I0+10+0+0:vgprValuA_X0_I0+10+0+0+1], a[116:119]
/*  mfmaIndex:27  */
_ds_load_u16 v[vgprValuB_X1_I0+5], v[vgprLocalReadAddrB] offset:9600 // L -> Reg lro=4096 swapByteOffset=0 ti=32 vIdx=2 rIdx=2 oIdx=0 buffer=1 iui=0
v_mfma_f32_16x16x16_bf16 a[112+0:115+0], v[vgprValuB_X0_I0+6+0+0:vgprValuB_X0_I0+6+0+0+1], v[vgprValuA_X0_I0+8+0+0:vgprValuA_X0_I0+8+0+0+1], a[112:115]
/*  mfmaIndex:28  */
_ds_load_u16_d16_hi v[vgprValuB_X1_I0_D1+5], v[vgprLocalReadAddrB] offset:10112 // L -> Reg lro=4096 swapByteOffset=0 ti=32 vIdx=2 rIdx=3 oIdx=0 buffer=1 iui=0
v_mfma_f32_16x16x16_bf16 a[108+0:111+0], v[vgprValuB_X0_I0+6+0+0:vgprValuB_X0_I0+6+0+0+1], v[vgprValuA_X0_I0+6+0+0:vgprValuA_X0_I0+6+0+0+1], a[108:111]
/*  mfmaIndex:29  */
_ds_load_u16 v[vgprValuB_X1_I0+6], v[vgprLocalReadAddrB] offset:8640 // L -> Reg lro=4096 swapByteOffset=0 ti=32 vIdx=3 rIdx=0 oIdx=0 buffer=1 iui=0
v_mfma_f32_16x16x16_bf16 a[104+0:107+0], v[vgprValuB_X0_I0+6+0+0:vgprValuB_X0_I0+6+0+0+1], v[vgprValuA_X0_I0+4+0+0:vgprValuA_X0_I0+4+0+0+1], a[104:107]
/*  mfmaIndex:30  */
_ds_load_u16_d16_hi v[vgprValuB_X1_I0_D1+6], v[vgprLocalReadAddrB] offset:9152 // L -> Reg lro=4096 swapByteOffset=0 ti=32 vIdx=3 rIdx=1 oIdx=0 buffer=1 iui=0
v_mfma_f32_16x16x16_bf16 a[100+0:103+0], v[vgprValuB_X0_I0+6+0+0:vgprValuB_X0_I0+6+0+0+1], v[vgprValuA_X0_I0+2+0+0:vgprValuA_X0_I0+2+0+0+1], a[100:103]
/*  mfmaIndex:31  */
_ds_load_u16 v[vgprValuB_X1_I0+7], v[vgprLocalReadAddrB] offset:9664 // L -> Reg lro=4096 swapByteOffset=0 ti=32 vIdx=3 rIdx=2 oIdx=0 buffer=1 iui=0
v_mfma_f32_16x16x16_bf16 a[96+0:99+0], v[vgprValuB_X0_I0+6+0+0:vgprValuB_X0_I0+6+0+0+1], v[vgprValuA_X0_I0+0+0+0:vgprValuA_X0_I0+0+0+0+1], a[96:99]
/*  mfmaIndex:32  */
_ds_load_u16_d16_hi v[vgprValuB_X1_I0_D1+7], v[vgprLocalReadAddrB] offset:10176 // L -> Reg lro=4096 swapByteOffset=0 ti=32 vIdx=3 rIdx=3 oIdx=0 buffer=1 iui=0
v_mfma_f32_16x16x16_bf16 a[128+0:131+0], v[vgprValuB_X0_I0+8+0+0:vgprValuB_X0_I0+8+0+0+1], v[vgprValuA_X0_I0+0+0+0:vgprValuA_X0_I0+0+0+0+1], a[128:131]
/*  mfmaIndex:33  */
_ds_load_u16 v[vgprValuB_X1_I0+8], v[vgprLocalReadAddrB] offset:8704 // L -> Reg lro=4096 swapByteOffset=0 ti=32 vIdx=4 rIdx=0 oIdx=0 buffer=1 iui=0
v_mfma_f32_16x16x16_bf16 a[132+0:135+0], v[vgprValuB_X0_I0+8+0+0:vgprValuB_X0_I0+8+0+0+1], v[vgprValuA_X0_I0+2+0+0:vgprValuA_X0_I0+2+0+0+1], a[132:135]
/*  mfmaIndex:34  */
_ds_load_u16_d16_hi v[vgprValuB_X1_I0_D1+8], v[vgprLocalReadAddrB] offset:9216 // L -> Reg lro=4096 swapByteOffset=0 ti=32 vIdx=4 rIdx=1 oIdx=0 buffer=1 iui=0
v_mfma_f32_16x16x16_bf16 a[136+0:139+0], v[vgprValuB_X0_I0+8+0+0:vgprValuB_X0_I0+8+0+0+1], v[vgprValuA_X0_I0+4+0+0:vgprValuA_X0_I0+4+0+0+1], a[136:139]
/*  mfmaIndex:35  */
_ds_load_u16 v[vgprValuB_X1_I0+9], v[vgprLocalReadAddrB] offset:9728 // L -> Reg lro=4096 swapByteOffset=0 ti=32 vIdx=4 rIdx=2 oIdx=0 buffer=1 iui=0
v_mfma_f32_16x16x16_bf16 a[140+0:143+0], v[vgprValuB_X0_I0+8+0+0:vgprValuB_X0_I0+8+0+0+1], v[vgprValuA_X0_I0+6+0+0:vgprValuA_X0_I0+6+0+0+1], a[140:143]
/*  mfmaIndex:36  */
_ds_load_u16_d16_hi v[vgprValuB_X1_I0_D1+9], v[vgprLocalReadAddrB] offset:10240 // L -> Reg lro=4096 swapByteOffset=0 ti=32 vIdx=4 rIdx=3 oIdx=0 buffer=1 iui=0
v_mfma_f32_16x16x16_bf16 a[144+0:147+0], v[vgprValuB_X0_I0+8+0+0:vgprValuB_X0_I0+8+0+0+1], v[vgprValuA_X0_I0+8+0+0:vgprValuA_X0_I0+8+0+0+1], a[144:147]
/*  mfmaIndex:37  */
_ds_load_u16 v[vgprValuB_X1_I0+10], v[vgprLocalReadAddrB] offset:8768 // L -> Reg lro=4096 swapByteOffset=0 ti=32 vIdx=5 rIdx=0 oIdx=0 buffer=1 iui=0
v_mfma_f32_16x16x16_bf16 a[148+0:151+0], v[vgprValuB_X0_I0+8+0+0:vgprValuB_X0_I0+8+0+0+1], v[vgprValuA_X0_I0+10+0+0:vgprValuA_X0_I0+10+0+0+1], a[148:151]
/*  mfmaIndex:38  */
_ds_load_u16_d16_hi v[vgprValuB_X1_I0_D1+10], v[vgprLocalReadAddrB] offset:9280 // L -> Reg lro=4096 swapByteOffset=0 ti=32 vIdx=5 rIdx=1 oIdx=0 buffer=1 iui=0
v_mfma_f32_16x16x16_bf16 a[152+0:155+0], v[vgprValuB_X0_I0+8+0+0:vgprValuB_X0_I0+8+0+0+1], v[vgprValuA_X0_I0+12+0+0:vgprValuA_X0_I0+12+0+0+1], a[152:155]
/*  mfmaIndex:39  */
_ds_load_u16 v[vgprValuB_X1_I0+11], v[vgprLocalReadAddrB] offset:9792 // L -> Reg lro=4096 swapByteOffset=0 ti=32 vIdx=5 rIdx=2 oIdx=0 buffer=1 iui=0
v_mfma_f32_16x16x16_bf16 a[156+0:159+0], v[vgprValuB_X0_I0+8+0+0:vgprValuB_X0_I0+8+0+0+1], v[vgprValuA_X0_I0+14+0+0:vgprValuA_X0_I0+14+0+0+1], a[156:159]
/*  mfmaIndex:40  */
_ds_load_u16_d16_hi v[vgprValuB_X1_I0_D1+11], v[vgprLocalReadAddrB] offset:10304 // L -> Reg lro=4096 swapByteOffset=0 ti=32 vIdx=5 rIdx=3 oIdx=0 buffer=1 iui=0
v_mfma_f32_16x16x16_bf16 a[188+0:191+0], v[vgprValuB_X0_I0+10+0+0:vgprValuB_X0_I0+10+0+0+1], v[vgprValuA_X0_I0+14+0+0:vgprValuA_X0_I0+14+0+0+1], a[188:191]
/*  mfmaIndex:41  */
_ds_load_u16 v[vgprValuB_X1_I0+12], v[vgprLocalReadAddrB] offset:8832 // L -> Reg lro=4096 swapByteOffset=0 ti=32 vIdx=6 rIdx=0 oIdx=0 buffer=1 iui=0
v_mfma_f32_16x16x16_bf16 a[184+0:187+0], v[vgprValuB_X0_I0+10+0+0:vgprValuB_X0_I0+10+0+0+1], v[vgprValuA_X0_I0+12+0+0:vgprValuA_X0_I0+12+0+0+1], a[184:187]
/*  mfmaIndex:42  */
_ds_load_u16_d16_hi v[vgprValuB_X1_I0_D1+12], v[vgprLocalReadAddrB] offset:9344 // L -> Reg lro=4096 swapByteOffset=0 ti=32 vIdx=6 rIdx=1 oIdx=0 buffer=1 iui=0
v_mfma_f32_16x16x16_bf16 a[180+0:183+0], v[vgprValuB_X0_I0+10+0+0:vgprValuB_X0_I0+10+0+0+1], v[vgprValuA_X0_I0+10+0+0:vgprValuA_X0_I0+10+0+0+1], a[180:183]
/*  mfmaIndex:43  */
_ds_load_u16 v[vgprValuB_X1_I0+13], v[vgprLocalReadAddrB] offset:9856 // L -> Reg lro=4096 swapByteOffset=0 ti=32 vIdx=6 rIdx=2 oIdx=0 buffer=1 iui=0
v_mfma_f32_16x16x16_bf16 a[176+0:179+0], v[vgprValuB_X0_I0+10+0+0:vgprValuB_X0_I0+10+0+0+1], v[vgprValuA_X0_I0+8+0+0:vgprValuA_X0_I0+8+0+0+1], a[176:179]
/*  mfmaIndex:44  */
_ds_load_u16_d16_hi v[vgprValuB_X1_I0_D1+13], v[vgprLocalReadAddrB] offset:10368 // L -> Reg lro=4096 swapByteOffset=0 ti=32 vIdx=6 rIdx=3 oIdx=0 buffer=1 iui=0
v_mfma_f32_16x16x16_bf16 a[172+0:175+0], v[vgprValuB_X0_I0+10+0+0:vgprValuB_X0_I0+10+0+0+1], v[vgprValuA_X0_I0+6+0+0:vgprValuA_X0_I0+6+0+0+1], a[172:175]
/*  mfmaIndex:45  */
_ds_load_u16 v[vgprValuB_X1_I0+14], v[vgprLocalReadAddrB] offset:8896 // L -> Reg lro=4096 swapByteOffset=0 ti=32 vIdx=7 rIdx=0 oIdx=0 buffer=1 iui=0
v_mfma_f32_16x16x16_bf16 a[168+0:171+0], v[vgprValuB_X0_I0+10+0+0:vgprValuB_X0_I0+10+0+0+1], v[vgprValuA_X0_I0+4+0+0:vgprValuA_X0_I0+4+0+0+1], a[168:171]
/*  mfmaIndex:46  */
_ds_load_u16_d16_hi v[vgprValuB_X1_I0_D1+14], v[vgprLocalReadAddrB] offset:9408 // L -> Reg lro=4096 swapByteOffset=0 ti=32 vIdx=7 rIdx=1 oIdx=0 buffer=1 iui=0
v_mfma_f32_16x16x16_bf16 a[164+0:167+0], v[vgprValuB_X0_I0+10+0+0:vgprValuB_X0_I0+10+0+0+1], v[vgprValuA_X0_I0+2+0+0:vgprValuA_X0_I0+2+0+0+1], a[164:167]
/*  mfmaIndex:47  */
_ds_load_u16 v[vgprValuB_X1_I0+15], v[vgprLocalReadAddrB] offset:9920 // L -> Reg lro=4096 swapByteOffset=0 ti=32 vIdx=7 rIdx=2 oIdx=0 buffer=1 iui=0
v_mfma_f32_16x16x16_bf16 a[160+0:163+0], v[vgprValuB_X0_I0+10+0+0:vgprValuB_X0_I0+10+0+0+1], v[vgprValuA_X0_I0+0+0+0:vgprValuA_X0_I0+0+0+0+1], a[160:163]
/*  mfmaIndex:48  */
_ds_load_u16_d16_hi v[vgprValuB_X1_I0_D1+15], v[vgprLocalReadAddrB] offset:10432 // L -> Reg lro=4096 swapByteOffset=0 ti=32 vIdx=7 rIdx=3 oIdx=0 buffer=1 iui=0
v_mfma_f32_16x16x16_bf16 a[192+0:195+0], v[vgprValuB_X0_I0+12+0+0:vgprValuB_X0_I0+12+0+0+1], v[vgprValuA_X0_I0+0+0+0:vgprValuA_X0_I0+0+0+0+1], a[192:195]
/*  mfmaIndex:49  */
/* localReadsVacancy: latencyLeft 2 */
v_mfma_f32_16x16x16_bf16 a[196+0:199+0], v[vgprValuB_X0_I0+12+0+0:vgprValuB_X0_I0+12+0+0+1], v[vgprValuA_X0_I0+2+0+0:vgprValuA_X0_I0+2+0+0+1], a[196:199]
/*  mfmaIndex:50  */
/* localReadsVacancy: latencyLeft 2 */
	;; [unrolled: 3-line block ×3, first 2 shown]
/* 1 LDS buffer: read-sync-write */
s_waitcnt lgkmcnt(0)                               // 
s_barrier                                          // 
v_mfma_f32_16x16x16_bf16 a[204+0:207+0], v[vgprValuB_X0_I0+12+0+0:vgprValuB_X0_I0+12+0+0+1], v[vgprValuA_X0_I0+6+0+0:vgprValuA_X0_I0+6+0+0+1], a[204:207]
/*  mfmaIndex:52  */
s_setprio 3                                        // store optimization
/* sched write - iter 0 writesPerItem=1 */
s_waitcnt vmcnt(0)                                 // lgkmcnt=-1 vmcnt=0wait for global read before writing to local
_ds_store_b128 v[vgprLocalWriteAddrA], v[vgprG2LA+0:vgprG2LA+0+3] offset:0 // lwoA_0_0_0_0 = (0*LSCA) + (0*LSPA)(*MT0I+PAD) = 0
v_mfma_f32_16x16x16_bf16 a[208+0:211+0], v[vgprValuB_X0_I0+12+0+0:vgprValuB_X0_I0+12+0+0+1], v[vgprValuA_X0_I0+8+0+0:vgprValuA_X0_I0+8+0+0+1], a[208:211]
/*  mfmaIndex:53  */
v_mfma_f32_16x16x16_bf16 a[212+0:215+0], v[vgprValuB_X0_I0+12+0+0:vgprValuB_X0_I0+12+0+0+1], v[vgprValuA_X0_I0+10+0+0:vgprValuA_X0_I0+10+0+0+1], a[212:215]
/*  mfmaIndex:54  */
	;; [unrolled: 2-line block ×3, first 2 shown]
/* sched write - iter 0 writesPerItem=1 */
s_waitcnt vmcnt(0)                                 // lgkmcnt=-1 vmcnt=0wait for global read before writing to local
_ds_store_b128 v[vgprLocalWriteAddrA], v[vgprG2LA+4:vgprG2LA+4+3] offset:256 // lwoA_1_0_0_0 = (1*LSCA) + (0*LSPA)(*MT0I+PAD) = 256
v_mfma_f32_16x16x16_bf16 a[220+0:223+0], v[vgprValuB_X0_I0+12+0+0:vgprValuB_X0_I0+12+0+0+1], v[vgprValuA_X0_I0+14+0+0:vgprValuA_X0_I0+14+0+0+1], a[220:223]
/*  mfmaIndex:56  */
v_mfma_f32_16x16x16_bf16 a[252+0:255+0], v[vgprValuB_X0_I0+14+0+0:vgprValuB_X0_I0+14+0+0+1], v[vgprValuA_X0_I0+14+0+0:vgprValuA_X0_I0+14+0+0+1], a[252:255]
/*  mfmaIndex:57  */
	;; [unrolled: 2-line block ×3, first 2 shown]
/* sched write - iter 0 writesPerItem=1 */
s_waitcnt vmcnt(0)                                 // lgkmcnt=-1 vmcnt=0wait for global read before writing to local
_ds_store_b128 v[vgprLocalWriteAddrA], v[vgprG2LA+8:vgprG2LA+8+3] offset:2048 // lwoA_0_0_1_0 = (0*LSCA) + (1*LSPA)(*MT0I+PAD) = 2048
v_mfma_f32_16x16x16_bf16 a[244+0:247+0], v[vgprValuB_X0_I0+14+0+0:vgprValuB_X0_I0+14+0+0+1], v[vgprValuA_X0_I0+10+0+0:vgprValuA_X0_I0+10+0+0+1], a[244:247]
/*  mfmaIndex:59  */
v_mfma_f32_16x16x16_bf16 a[240+0:243+0], v[vgprValuB_X0_I0+14+0+0:vgprValuB_X0_I0+14+0+0+1], v[vgprValuA_X0_I0+8+0+0:vgprValuA_X0_I0+8+0+0+1], a[240:243]
/*  mfmaIndex:60  */
	;; [unrolled: 2-line block ×3, first 2 shown]
/* sched write - iter 0 writesPerItem=1 */
s_waitcnt vmcnt(0)                                 // lgkmcnt=-1 vmcnt=0wait for global read before writing to local
_ds_store_b128 v[vgprLocalWriteAddrA], v[vgprG2LA+12:vgprG2LA+12+3] offset:2304 // lwoA_1_0_1_0 = (1*LSCA) + (1*LSPA)(*MT0I+PAD) = 2304
v_mfma_f32_16x16x16_bf16 a[232+0:235+0], v[vgprValuB_X0_I0+14+0+0:vgprValuB_X0_I0+14+0+0+1], v[vgprValuA_X0_I0+4+0+0:vgprValuA_X0_I0+4+0+0+1], a[232:235]
/*  mfmaIndex:62  */
v_mfma_f32_16x16x16_bf16 a[228+0:231+0], v[vgprValuB_X0_I0+14+0+0:vgprValuB_X0_I0+14+0+0+1], v[vgprValuA_X0_I0+2+0+0:vgprValuA_X0_I0+2+0+0+1], a[228:231]
/*  mfmaIndex:63  */

/* local read swap offsets a */

/* local read swap offsets b */

/* local read init pointers a */

/* localReadInitPointers */

/* local read init pointers b */

/* localReadInitPointers */
v_mfma_f32_16x16x16_bf16 a[224+0:227+0], v[vgprValuB_X0_I0+14+0+0:vgprValuB_X0_I0+14+0+0+1], v[vgprValuA_X0_I0+0+0+0:vgprValuA_X0_I0+0+0+0+1], a[224:227]
/* numPrefetchIter=0 */
/* dataAtIterA=-1 numReadsIterA=1 skipReadsIterA=1 readsPerIterA=16 */
/* dataAtIterB=-1 numReadsIterB=1 skipReadsIterB=1 readsPerIterB=32 */


/* iter 1 (swap and reset local write pointers iteration)  */

/*  grEndMfmaIndex:12, lwStartMfmaIndex:52, lwEndMfmaIndex:75  */
/*  numMfmaForLR:50, barrierMfmaIndex:77, LocalWritePerMfma:0.310 */
/*  mfmaIndex:64  */
/* sched write - iter 1 writesPerItem=1 */
s_waitcnt vmcnt(0)                                 // lgkmcnt=-1 vmcnt=0wait for global read before writing to local
_ds_store_b128 v[vgprLocalWriteAddrB], v[vgprG2LB+0:vgprG2LB+0+3] offset:0 // lwoB_0_0_0_0 = (0*LSCB) + (0*LSPB)(*MT1J+PAD) = 0
/* pack scheduling: packAIdx:2, packBIdx:2 */
v_perm_b32 v[vgprValuA_X1_I0+0], v[vgprValuA_X1_I0_D1+0], v[vgprValuA_X1_I0_D0+0], s[sgprPackKForV0] // select K=01 for vector=0
v_perm_b32 v[vgprValuA_X1_I0+1], v[vgprValuA_X1_I0_D3+0], v[vgprValuA_X1_I0_D2+0], s[sgprPackKForV0] // select K=23 for vector=0
v_or_b32 v[vgprValuB_X1_I0+0], v[vgprValuB_X1_I0+0], v[vgprValuB_X1_I0_D1+0] // pack two half Vgpr to one Vgpr
v_or_b32 v[vgprValuB_X1_I0+1], v[vgprValuB_X1_I0+1], v[vgprValuB_X1_I0_D1+1] // pack two half Vgpr to one Vgpr
v_perm_b32 v[vgprValuA_X1_I0+2], v[vgprValuA_X1_I0_D1+0], v[vgprValuA_X1_I0_D0+0], s[sgprPackKForV1] // select K=01 for vector=1
v_perm_b32 v[vgprValuA_X1_I0+3], v[vgprValuA_X1_I0_D3+0], v[vgprValuA_X1_I0_D2+0], s[sgprPackKForV1] // select K=23 for vector=1
v_mfma_f32_16x16x16_bf16 a[0+0:3+0], v[vgprValuB_X1_I0+0+0+0:vgprValuB_X1_I0+0+0+0+1], v[vgprValuA_X1_I0+0+0+0:vgprValuA_X1_I0+0+0+0+1], a[0:3]
/*  mfmaIndex:65  */
/* pack scheduling: packAIdx:4, packBIdx:2 */
v_perm_b32 v[vgprValuA_X1_I0+4], v[vgprValuA_X1_I0_D1+1], v[vgprValuA_X1_I0_D0+1], s[sgprPackKForV0] // select K=01 for vector=0
v_perm_b32 v[vgprValuA_X1_I0+5], v[vgprValuA_X1_I0_D3+1], v[vgprValuA_X1_I0_D2+1], s[sgprPackKForV0] // select K=23 for vector=0
v_mfma_f32_16x16x16_bf16 a[4+0:7+0], v[vgprValuB_X1_I0+0+0+0:vgprValuB_X1_I0+0+0+0+1], v[vgprValuA_X1_I0+2+0+0:vgprValuA_X1_I0+2+0+0+1], a[4:7]
/*  mfmaIndex:66  */
/* pack scheduling: packAIdx:6, packBIdx:2 */
v_perm_b32 v[vgprValuA_X1_I0+6], v[vgprValuA_X1_I0_D1+1], v[vgprValuA_X1_I0_D0+1], s[sgprPackKForV1] // select K=01 for vector=1
v_perm_b32 v[vgprValuA_X1_I0+7], v[vgprValuA_X1_I0_D3+1], v[vgprValuA_X1_I0_D2+1], s[sgprPackKForV1] // select K=23 for vector=1
v_mfma_f32_16x16x16_bf16 a[8+0:11+0], v[vgprValuB_X1_I0+0+0+0:vgprValuB_X1_I0+0+0+0+1], v[vgprValuA_X1_I0+4+0+0:vgprValuA_X1_I0+4+0+0+1], a[8:11]
/*  mfmaIndex:67  */
/* pack scheduling: packAIdx:8, packBIdx:2 */
v_perm_b32 v[vgprValuA_X1_I0+8], v[vgprValuA_X1_I0_D1+2], v[vgprValuA_X1_I0_D0+2], s[sgprPackKForV0] // select K=01 for vector=0
v_perm_b32 v[vgprValuA_X1_I0+9], v[vgprValuA_X1_I0_D3+2], v[vgprValuA_X1_I0_D2+2], s[sgprPackKForV0] // select K=23 for vector=0
v_mfma_f32_16x16x16_bf16 a[12+0:15+0], v[vgprValuB_X1_I0+0+0+0:vgprValuB_X1_I0+0+0+0+1], v[vgprValuA_X1_I0+6+0+0:vgprValuA_X1_I0+6+0+0+1], a[12:15]
/*  mfmaIndex:68  */
/* sched write - iter 1 writesPerItem=1 */
s_waitcnt vmcnt(0)                                 // lgkmcnt=-1 vmcnt=0wait for global read before writing to local
_ds_store_b128 v[vgprLocalWriteAddrB], v[vgprG2LB+4:vgprG2LB+4+3] offset:256 // lwoB_1_0_0_0 = (1*LSCB) + (0*LSPB)(*MT1J+PAD) = 256
/* pack scheduling: packAIdx:10, packBIdx:2 */
v_perm_b32 v[vgprValuA_X1_I0+10], v[vgprValuA_X1_I0_D1+2], v[vgprValuA_X1_I0_D0+2], s[sgprPackKForV1] // select K=01 for vector=1
v_perm_b32 v[vgprValuA_X1_I0+11], v[vgprValuA_X1_I0_D3+2], v[vgprValuA_X1_I0_D2+2], s[sgprPackKForV1] // select K=23 for vector=1
v_mfma_f32_16x16x16_bf16 a[16+0:19+0], v[vgprValuB_X1_I0+0+0+0:vgprValuB_X1_I0+0+0+0+1], v[vgprValuA_X1_I0+8+0+0:vgprValuA_X1_I0+8+0+0+1], a[16:19]
/*  mfmaIndex:69  */
/* pack scheduling: packAIdx:12, packBIdx:2 */
v_perm_b32 v[vgprValuA_X1_I0+12], v[vgprValuA_X1_I0_D1+3], v[vgprValuA_X1_I0_D0+3], s[sgprPackKForV0] // select K=01 for vector=0
v_perm_b32 v[vgprValuA_X1_I0+13], v[vgprValuA_X1_I0_D3+3], v[vgprValuA_X1_I0_D2+3], s[sgprPackKForV0] // select K=23 for vector=0
v_mfma_f32_16x16x16_bf16 a[20+0:23+0], v[vgprValuB_X1_I0+0+0+0:vgprValuB_X1_I0+0+0+0+1], v[vgprValuA_X1_I0+10+0+0:vgprValuA_X1_I0+10+0+0+1], a[20:23]
/*  mfmaIndex:70  */
/* pack scheduling: packAIdx:14, packBIdx:2 */
v_perm_b32 v[vgprValuA_X1_I0+14], v[vgprValuA_X1_I0_D1+3], v[vgprValuA_X1_I0_D0+3], s[sgprPackKForV1] // select K=01 for vector=1
v_perm_b32 v[vgprValuA_X1_I0+15], v[vgprValuA_X1_I0_D3+3], v[vgprValuA_X1_I0_D2+3], s[sgprPackKForV1] // select K=23 for vector=1
v_mfma_f32_16x16x16_bf16 a[24+0:27+0], v[vgprValuB_X1_I0+0+0+0:vgprValuB_X1_I0+0+0+0+1], v[vgprValuA_X1_I0+12+0+0:vgprValuA_X1_I0+12+0+0+1], a[24:27]
/*  mfmaIndex:71  */
/* sched write - iter 1 writesPerItem=1 */
s_waitcnt vmcnt(0)                                 // lgkmcnt=-1 vmcnt=0wait for global read before writing to local
_ds_store_b128 v[vgprLocalWriteAddrB], v[vgprG2LB+8:vgprG2LB+8+3] offset:2112 // lwoB_0_0_1_0 = (0*LSCB) + (1*LSPB)(*MT1J+PAD) = 2112
/* pack scheduling: packAIdx:16, packBIdx:2 */
v_or_b32 v[vgprValuB_X1_I0+2], v[vgprValuB_X1_I0+2], v[vgprValuB_X1_I0_D1+2] // pack two half Vgpr to one Vgpr
v_or_b32 v[vgprValuB_X1_I0+3], v[vgprValuB_X1_I0+3], v[vgprValuB_X1_I0_D1+3] // pack two half Vgpr to one Vgpr
v_mfma_f32_16x16x16_bf16 a[28+0:31+0], v[vgprValuB_X1_I0+0+0+0:vgprValuB_X1_I0+0+0+0+1], v[vgprValuA_X1_I0+14+0+0:vgprValuA_X1_I0+14+0+0+1], a[28:31]
/*  mfmaIndex:72  */
/* pack scheduling: packAIdx:16, packBIdx:4 */
v_or_b32 v[vgprValuB_X1_I0+4], v[vgprValuB_X1_I0+4], v[vgprValuB_X1_I0_D1+4] // pack two half Vgpr to one Vgpr
v_or_b32 v[vgprValuB_X1_I0+5], v[vgprValuB_X1_I0+5], v[vgprValuB_X1_I0_D1+5] // pack two half Vgpr to one Vgpr
v_mfma_f32_16x16x16_bf16 a[60+0:63+0], v[vgprValuB_X1_I0+2+0+0:vgprValuB_X1_I0+2+0+0+1], v[vgprValuA_X1_I0+14+0+0:vgprValuA_X1_I0+14+0+0+1], a[60:63]
/*  mfmaIndex:73  */
	;; [unrolled: 5-line block ×3, first 2 shown]
/* sched write - iter 1 writesPerItem=1 */
s_waitcnt vmcnt(0)                                 // lgkmcnt=-1 vmcnt=0wait for global read before writing to local
_ds_store_b128 v[vgprLocalWriteAddrB], v[vgprG2LB+12:vgprG2LB+12+3] offset:2368 // lwoB_1_0_1_0 = (1*LSCB) + (1*LSPB)(*MT1J+PAD) = 2368
/* pack scheduling: packAIdx:16, packBIdx:4 */
v_or_b32 v[vgprValuB_X1_I0+8], v[vgprValuB_X1_I0+8], v[vgprValuB_X1_I0_D1+8] // pack two half Vgpr to one Vgpr
v_or_b32 v[vgprValuB_X1_I0+9], v[vgprValuB_X1_I0+9], v[vgprValuB_X1_I0_D1+9] // pack two half Vgpr to one Vgpr
v_mfma_f32_16x16x16_bf16 a[52+0:55+0], v[vgprValuB_X1_I0+2+0+0:vgprValuB_X1_I0+2+0+0+1], v[vgprValuA_X1_I0+10+0+0:vgprValuA_X1_I0+10+0+0+1], a[52:55]
/*  mfmaIndex:75  */

/* local write swap offsets a */

/* local write swap offsets b */
/* pack scheduling: packAIdx:16, packBIdx:4 */
v_or_b32 v[vgprValuB_X1_I0+10], v[vgprValuB_X1_I0+10], v[vgprValuB_X1_I0_D1+10] // pack two half Vgpr to one Vgpr
v_or_b32 v[vgprValuB_X1_I0+11], v[vgprValuB_X1_I0+11], v[vgprValuB_X1_I0_D1+11] // pack two half Vgpr to one Vgpr
v_mfma_f32_16x16x16_bf16 a[48+0:51+0], v[vgprValuB_X1_I0+2+0+0:vgprValuB_X1_I0+2+0+0+1], v[vgprValuA_X1_I0+8+0+0:vgprValuA_X1_I0+8+0+0+1], a[48:51]
/*  mfmaIndex:76  */
/* pack scheduling: packAIdx:16, packBIdx:4 */
v_or_b32 v[vgprValuB_X1_I0+12], v[vgprValuB_X1_I0+12], v[vgprValuB_X1_I0_D1+12] // pack two half Vgpr to one Vgpr
v_or_b32 v[vgprValuB_X1_I0+13], v[vgprValuB_X1_I0+13], v[vgprValuB_X1_I0_D1+13] // pack two half Vgpr to one Vgpr
v_mfma_f32_16x16x16_bf16 a[44+0:47+0], v[vgprValuB_X1_I0+2+0+0:vgprValuB_X1_I0+2+0+0+1], v[vgprValuA_X1_I0+6+0+0:vgprValuA_X1_I0+6+0+0+1], a[44:47]
s_setprio 0                                        // store optimization
/*  mfmaIndex:77  */
s_waitcnt lgkmcnt(0)                               // lgkmcnt=0 vmcnt=-13wait for local write
// Skip force waitcnt0
s_barrier //
/* pack scheduling: packAIdx:16, packBIdx:4 */
v_or_b32 v[vgprValuB_X1_I0+14], v[vgprValuB_X1_I0+14], v[vgprValuB_X1_I0_D1+14] // pack two half Vgpr to one Vgpr
v_or_b32 v[vgprValuB_X1_I0+15], v[vgprValuB_X1_I0+15], v[vgprValuB_X1_I0_D1+15] // pack two half Vgpr to one Vgpr
v_mfma_f32_16x16x16_bf16 a[40+0:43+0], v[vgprValuB_X1_I0+2+0+0:vgprValuB_X1_I0+2+0+0+1], v[vgprValuA_X1_I0+4+0+0:vgprValuA_X1_I0+4+0+0+1], a[40:43]
/*  mfmaIndex:78  */
s_setprio 3                                        // store optimization
_ds_load_b32 v[vgprValuA_X0_I0_D0+0], v[vgprLocalReadAddrA] offset:0 // L -> Reg lro=0 swapByteOffset=0 ti=64 vIdx=0 rIdx=0 oIdx=0 buffer=0 iui=0
v_mfma_f32_16x16x16_bf16 a[36+0:39+0], v[vgprValuB_X1_I0+2+0+0:vgprValuB_X1_I0+2+0+0+1], v[vgprValuA_X1_I0+2+0+0:vgprValuA_X1_I0+2+0+0+1], a[36:39]
/*  mfmaIndex:79  */
_ds_load_b32 v[vgprValuA_X0_I0_D1+0], v[vgprLocalReadAddrA] offset:512 // L -> Reg lro=0 swapByteOffset=0 ti=64 vIdx=0 rIdx=1 oIdx=0 buffer=0 iui=0
v_mfma_f32_16x16x16_bf16 a[32+0:35+0], v[vgprValuB_X1_I0+2+0+0:vgprValuB_X1_I0+2+0+0+1], v[vgprValuA_X1_I0+0+0+0:vgprValuA_X1_I0+0+0+0+1], a[32:35]
/*  mfmaIndex:80  */
_ds_load_b32 v[vgprValuA_X0_I0_D2+0], v[vgprLocalReadAddrA] offset:1024 // L -> Reg lro=0 swapByteOffset=0 ti=64 vIdx=0 rIdx=2 oIdx=0 buffer=0 iui=0
v_mfma_f32_16x16x16_bf16 a[64+0:67+0], v[vgprValuB_X1_I0+4+0+0:vgprValuB_X1_I0+4+0+0+1], v[vgprValuA_X1_I0+0+0+0:vgprValuA_X1_I0+0+0+0+1], a[64:67]
/*  mfmaIndex:81  */
_ds_load_b32 v[vgprValuA_X0_I0_D3+0], v[vgprLocalReadAddrA] offset:1536 // L -> Reg lro=0 swapByteOffset=0 ti=64 vIdx=0 rIdx=3 oIdx=0 buffer=0 iui=0
v_mfma_f32_16x16x16_bf16 a[68+0:71+0], v[vgprValuB_X1_I0+4+0+0:vgprValuB_X1_I0+4+0+0+1], v[vgprValuA_X1_I0+2+0+0:vgprValuA_X1_I0+2+0+0+1], a[68:71]
/*  mfmaIndex:82  */
_ds_load_u16 v[vgprValuB_X0_I0+0], v[vgprLocalReadAddrB] offset:0 // L -> Reg lro=0 swapByteOffset=0 ti=32 vIdx=0 rIdx=0 oIdx=0 buffer=0 iui=0
v_mfma_f32_16x16x16_bf16 a[72+0:75+0], v[vgprValuB_X1_I0+4+0+0:vgprValuB_X1_I0+4+0+0+1], v[vgprValuA_X1_I0+4+0+0:vgprValuA_X1_I0+4+0+0+1], a[72:75]
/*  mfmaIndex:83  */
_ds_load_u16_d16_hi v[vgprValuB_X0_I0_D1+0], v[vgprLocalReadAddrB] offset:512 // L -> Reg lro=0 swapByteOffset=0 ti=32 vIdx=0 rIdx=1 oIdx=0 buffer=0 iui=0
v_mfma_f32_16x16x16_bf16 a[76+0:79+0], v[vgprValuB_X1_I0+4+0+0:vgprValuB_X1_I0+4+0+0+1], v[vgprValuA_X1_I0+6+0+0:vgprValuA_X1_I0+6+0+0+1], a[76:79]
/*  mfmaIndex:84  */
_ds_load_u16 v[vgprValuB_X0_I0+1], v[vgprLocalReadAddrB] offset:1024 // L -> Reg lro=0 swapByteOffset=0 ti=32 vIdx=0 rIdx=2 oIdx=0 buffer=0 iui=0
v_mfma_f32_16x16x16_bf16 a[80+0:83+0], v[vgprValuB_X1_I0+4+0+0:vgprValuB_X1_I0+4+0+0+1], v[vgprValuA_X1_I0+8+0+0:vgprValuA_X1_I0+8+0+0+1], a[80:83]
/*  mfmaIndex:85  */
_ds_load_u16_d16_hi v[vgprValuB_X0_I0_D1+1], v[vgprLocalReadAddrB] offset:1536 // L -> Reg lro=0 swapByteOffset=0 ti=32 vIdx=0 rIdx=3 oIdx=0 buffer=0 iui=0
v_mfma_f32_16x16x16_bf16 a[84+0:87+0], v[vgprValuB_X1_I0+4+0+0:vgprValuB_X1_I0+4+0+0+1], v[vgprValuA_X1_I0+10+0+0:vgprValuA_X1_I0+10+0+0+1], a[84:87]
/*  mfmaIndex:86  */
_ds_load_b32 v[vgprValuA_X0_I0_D0+1], v[vgprLocalReadAddrA] offset:128 // L -> Reg lro=0 swapByteOffset=0 ti=64 vIdx=1 rIdx=0 oIdx=0 buffer=0 iui=0
v_mfma_f32_16x16x16_bf16 a[88+0:91+0], v[vgprValuB_X1_I0+4+0+0:vgprValuB_X1_I0+4+0+0+1], v[vgprValuA_X1_I0+12+0+0:vgprValuA_X1_I0+12+0+0+1], a[88:91]
/*  mfmaIndex:87  */
_ds_load_b32 v[vgprValuA_X0_I0_D1+1], v[vgprLocalReadAddrA] offset:640 // L -> Reg lro=0 swapByteOffset=0 ti=64 vIdx=1 rIdx=1 oIdx=0 buffer=0 iui=0
v_mfma_f32_16x16x16_bf16 a[92+0:95+0], v[vgprValuB_X1_I0+4+0+0:vgprValuB_X1_I0+4+0+0+1], v[vgprValuA_X1_I0+14+0+0:vgprValuA_X1_I0+14+0+0+1], a[92:95]
/*  mfmaIndex:88  */
_ds_load_b32 v[vgprValuA_X0_I0_D2+1], v[vgprLocalReadAddrA] offset:1152 // L -> Reg lro=0 swapByteOffset=0 ti=64 vIdx=1 rIdx=2 oIdx=0 buffer=0 iui=0
v_mfma_f32_16x16x16_bf16 a[124+0:127+0], v[vgprValuB_X1_I0+6+0+0:vgprValuB_X1_I0+6+0+0+1], v[vgprValuA_X1_I0+14+0+0:vgprValuA_X1_I0+14+0+0+1], a[124:127]
/*  mfmaIndex:89  */
_ds_load_b32 v[vgprValuA_X0_I0_D3+1], v[vgprLocalReadAddrA] offset:1664 // L -> Reg lro=0 swapByteOffset=0 ti=64 vIdx=1 rIdx=3 oIdx=0 buffer=0 iui=0
v_mfma_f32_16x16x16_bf16 a[120+0:123+0], v[vgprValuB_X1_I0+6+0+0:vgprValuB_X1_I0+6+0+0+1], v[vgprValuA_X1_I0+12+0+0:vgprValuA_X1_I0+12+0+0+1], a[120:123]
/*  mfmaIndex:90  */
_ds_load_b32 v[vgprValuA_X0_I0_D0+2], v[vgprLocalReadAddrA] offset:256 // L -> Reg lro=0 swapByteOffset=0 ti=64 vIdx=2 rIdx=0 oIdx=0 buffer=0 iui=0
v_mfma_f32_16x16x16_bf16 a[116+0:119+0], v[vgprValuB_X1_I0+6+0+0:vgprValuB_X1_I0+6+0+0+1], v[vgprValuA_X1_I0+10+0+0:vgprValuA_X1_I0+10+0+0+1], a[116:119]
/*  mfmaIndex:91  */
_ds_load_b32 v[vgprValuA_X0_I0_D1+2], v[vgprLocalReadAddrA] offset:768 // L -> Reg lro=0 swapByteOffset=0 ti=64 vIdx=2 rIdx=1 oIdx=0 buffer=0 iui=0
v_mfma_f32_16x16x16_bf16 a[112+0:115+0], v[vgprValuB_X1_I0+6+0+0:vgprValuB_X1_I0+6+0+0+1], v[vgprValuA_X1_I0+8+0+0:vgprValuA_X1_I0+8+0+0+1], a[112:115]
/*  mfmaIndex:92  */
_ds_load_b32 v[vgprValuA_X0_I0_D2+2], v[vgprLocalReadAddrA] offset:1280 // L -> Reg lro=0 swapByteOffset=0 ti=64 vIdx=2 rIdx=2 oIdx=0 buffer=0 iui=0
v_mfma_f32_16x16x16_bf16 a[108+0:111+0], v[vgprValuB_X1_I0+6+0+0:vgprValuB_X1_I0+6+0+0+1], v[vgprValuA_X1_I0+6+0+0:vgprValuA_X1_I0+6+0+0+1], a[108:111]
/*  mfmaIndex:93  */
_ds_load_b32 v[vgprValuA_X0_I0_D3+2], v[vgprLocalReadAddrA] offset:1792 // L -> Reg lro=0 swapByteOffset=0 ti=64 vIdx=2 rIdx=3 oIdx=0 buffer=0 iui=0
	;; [unrolled: 12-line block ×3, first 2 shown]
v_mfma_f32_16x16x16_bf16 a[132+0:135+0], v[vgprValuB_X1_I0+8+0+0:vgprValuB_X1_I0+8+0+0+1], v[vgprValuA_X1_I0+2+0+0:vgprValuA_X1_I0+2+0+0+1], a[132:135]
/*  mfmaIndex:98  */
_ds_load_u16 v[vgprValuB_X0_I0+2], v[vgprLocalReadAddrB] offset:64 // L -> Reg lro=0 swapByteOffset=0 ti=32 vIdx=1 rIdx=0 oIdx=0 buffer=0 iui=0
v_mfma_f32_16x16x16_bf16 a[136+0:139+0], v[vgprValuB_X1_I0+8+0+0:vgprValuB_X1_I0+8+0+0+1], v[vgprValuA_X1_I0+4+0+0:vgprValuA_X1_I0+4+0+0+1], a[136:139]
/*  mfmaIndex:99  */
_ds_load_u16_d16_hi v[vgprValuB_X0_I0_D1+2], v[vgprLocalReadAddrB] offset:576 // L -> Reg lro=0 swapByteOffset=0 ti=32 vIdx=1 rIdx=1 oIdx=0 buffer=0 iui=0
v_mfma_f32_16x16x16_bf16 a[140+0:143+0], v[vgprValuB_X1_I0+8+0+0:vgprValuB_X1_I0+8+0+0+1], v[vgprValuA_X1_I0+6+0+0:vgprValuA_X1_I0+6+0+0+1], a[140:143]
/*  mfmaIndex:100  */
_ds_load_u16 v[vgprValuB_X0_I0+3], v[vgprLocalReadAddrB] offset:1088 // L -> Reg lro=0 swapByteOffset=0 ti=32 vIdx=1 rIdx=2 oIdx=0 buffer=0 iui=0
v_mfma_f32_16x16x16_bf16 a[144+0:147+0], v[vgprValuB_X1_I0+8+0+0:vgprValuB_X1_I0+8+0+0+1], v[vgprValuA_X1_I0+8+0+0:vgprValuA_X1_I0+8+0+0+1], a[144:147]
/*  mfmaIndex:101  */
_ds_load_u16_d16_hi v[vgprValuB_X0_I0_D1+3], v[vgprLocalReadAddrB] offset:1600 // L -> Reg lro=0 swapByteOffset=0 ti=32 vIdx=1 rIdx=3 oIdx=0 buffer=0 iui=0
	;; [unrolled: 6-line block ×14, first 2 shown]
v_mfma_f32_16x16x16_bf16 a[232+0:235+0], v[vgprValuB_X1_I0+14+0+0:vgprValuB_X1_I0+14+0+0+1], v[vgprValuA_X1_I0+4+0+0:vgprValuA_X1_I0+4+0+0+1], a[232:235]
/*  mfmaIndex:126  */
v_mfma_f32_16x16x16_bf16 a[228+0:231+0], v[vgprValuB_X1_I0+14+0+0:vgprValuB_X1_I0+14+0+0+1], v[vgprValuA_X1_I0+2+0+0:vgprValuA_X1_I0+2+0+0+1], a[228:231]
/*  mfmaIndex:127  */
v_mfma_f32_16x16x16_bf16 a[224+0:227+0], v[vgprValuB_X1_I0+14+0+0:vgprValuB_X1_I0+14+0+0+1], v[vgprValuA_X1_I0+0+0+0:vgprValuA_X1_I0+0+0+0+1], a[224:227]
s_setprio 0                                        // store optimization

label_0016:


/******************************************/
/* Opt. NoLoadLoop Without PAP - Begin                                      */
/******************************************/

s_cmpk_eq_u32 s[sgprBeta], 0x0                     // Beta == 0
s_cbranch_scc0 OptNLL_End_17                       // Branch if Beta is not zero

s_cmp_eq_u32 s[sgprAlpha], 1.0                     // Alpha == 1.0 ?
s_cbranch_scc0 OptNLL_End_17                       // branch if alpha != 1

s_and_b32 s62, 255, s[sgprSizeI]                   // s62 = s[sgprSizeI] % 256
s_add_u32 s63, -0x1, s[sgprNumWorkGroups0]         // 
s_cmp_ge_u32 s[sgprWorkGroup0], s63                // wg0 >= nwg0-1 ?
s_cselect_b32 s62, s62, 0                          // set rMT0
s_cmpk_gt_u32 s62, 0x0                             // rMT0 > 0
s_cbranch_scc1 OptNLL_End_17                       // jump if edges required
s_and_b32 s62, 255, s[sgprSizeJ]                   // s62 = s[sgprSizeJ] % 256
s_add_u32 s63, -0x1, s[sgprNumWorkGroups1]         // 
s_cmp_ge_u32 s[sgprWorkGroup1], s63                // wg1 >= nwg1-1
s_cselect_b32 s62, s62, 0                          // set rMT1
s_cmpk_gt_u32 s62, 0x0                             // rMT1 > 0
s_cbranch_scc1 OptNLL_End_17                       // jump if edges required




/* iter 0 (last unrolled loop) */

/*  grEndMfmaIndex:0, lwStartMfmaIndex:75, lwEndMfmaIndex:75  */
/*  numMfmaForLR:50, barrierMfmaIndex:77, LocalWritePerMfma:0.310 */
/*  mfmaIndex:0  */
s_waitcnt lgkmcnt(0)                               // lgkmcnt=0 vmcnt=-1wait for prior local read local write old=0, new=0 newLW=0 newLR=0
/* pack scheduling: packAIdx:2, packBIdx:2 */
v_perm_b32 v[vgprValuA_X0_I0+0], v[vgprValuA_X0_I0_D1+0], v[vgprValuA_X0_I0_D0+0], s[sgprPackKForV0] // select K=01 for vector=0
v_perm_b32 v[vgprValuA_X0_I0+1], v[vgprValuA_X0_I0_D3+0], v[vgprValuA_X0_I0_D2+0], s[sgprPackKForV0] // select K=23 for vector=0
v_or_b32 v[vgprValuB_X0_I0+0], v[vgprValuB_X0_I0+0], v[vgprValuB_X0_I0_D1+0] // pack two half Vgpr to one Vgpr
v_or_b32 v[vgprValuB_X0_I0+1], v[vgprValuB_X0_I0+1], v[vgprValuB_X0_I0_D1+1] // pack two half Vgpr to one Vgpr
v_perm_b32 v[vgprValuA_X0_I0+2], v[vgprValuA_X0_I0_D1+0], v[vgprValuA_X0_I0_D0+0], s[sgprPackKForV1] // select K=01 for vector=1
v_perm_b32 v[vgprValuA_X0_I0+3], v[vgprValuA_X0_I0_D3+0], v[vgprValuA_X0_I0_D2+0], s[sgprPackKForV1] // select K=23 for vector=1
v_mfma_f32_16x16x16_bf16 a[0+0:3+0], v[vgprValuB_X0_I0+0+0+0:vgprValuB_X0_I0+0+0+0+1], v[vgprValuA_X0_I0+0+0+0:vgprValuA_X0_I0+0+0+0+1], a[0:3]
/*  mfmaIndex:1  */
_ds_load_b32 v[vgprValuA_X1_I0_D0+0], v[vgprLocalReadAddrA] offset:8192 // L -> Reg lro=4096 swapByteOffset=0 ti=64 vIdx=0 rIdx=0 oIdx=0 buffer=1 iui=0
/* pack scheduling: packAIdx:4, packBIdx:2 */
v_perm_b32 v[vgprValuA_X0_I0+4], v[vgprValuA_X0_I0_D1+1], v[vgprValuA_X0_I0_D0+1], s[sgprPackKForV0] // select K=01 for vector=0
v_perm_b32 v[vgprValuA_X0_I0+5], v[vgprValuA_X0_I0_D3+1], v[vgprValuA_X0_I0_D2+1], s[sgprPackKForV0] // select K=23 for vector=0
v_mfma_f32_16x16x16_bf16 a[4+0:7+0], v[vgprValuB_X0_I0+0+0+0:vgprValuB_X0_I0+0+0+0+1], v[vgprValuA_X0_I0+2+0+0:vgprValuA_X0_I0+2+0+0+1], a[4:7]
/*  mfmaIndex:2  */
_ds_load_b32 v[vgprValuA_X1_I0_D1+0], v[vgprLocalReadAddrA] offset:8704 // L -> Reg lro=4096 swapByteOffset=0 ti=64 vIdx=0 rIdx=1 oIdx=0 buffer=1 iui=0
/* pack scheduling: packAIdx:6, packBIdx:2 */
v_perm_b32 v[vgprValuA_X0_I0+6], v[vgprValuA_X0_I0_D1+1], v[vgprValuA_X0_I0_D0+1], s[sgprPackKForV1] // select K=01 for vector=1
v_perm_b32 v[vgprValuA_X0_I0+7], v[vgprValuA_X0_I0_D3+1], v[vgprValuA_X0_I0_D2+1], s[sgprPackKForV1] // select K=23 for vector=1
v_mfma_f32_16x16x16_bf16 a[8+0:11+0], v[vgprValuB_X0_I0+0+0+0:vgprValuB_X0_I0+0+0+0+1], v[vgprValuA_X0_I0+4+0+0:vgprValuA_X0_I0+4+0+0+1], a[8:11]
/*  mfmaIndex:3  */
_ds_load_b32 v[vgprValuA_X1_I0_D2+0], v[vgprLocalReadAddrA] offset:9216 // L -> Reg lro=4096 swapByteOffset=0 ti=64 vIdx=0 rIdx=2 oIdx=0 buffer=1 iui=0
/* pack scheduling: packAIdx:8, packBIdx:2 */
v_perm_b32 v[vgprValuA_X0_I0+8], v[vgprValuA_X0_I0_D1+2], v[vgprValuA_X0_I0_D0+2], s[sgprPackKForV0] // select K=01 for vector=0
v_perm_b32 v[vgprValuA_X0_I0+9], v[vgprValuA_X0_I0_D3+2], v[vgprValuA_X0_I0_D2+2], s[sgprPackKForV0] // select K=23 for vector=0
v_mfma_f32_16x16x16_bf16 a[12+0:15+0], v[vgprValuB_X0_I0+0+0+0:vgprValuB_X0_I0+0+0+0+1], v[vgprValuA_X0_I0+6+0+0:vgprValuA_X0_I0+6+0+0+1], a[12:15]
/*  mfmaIndex:4  */
_ds_load_b32 v[vgprValuA_X1_I0_D3+0], v[vgprLocalReadAddrA] offset:9728 // L -> Reg lro=4096 swapByteOffset=0 ti=64 vIdx=0 rIdx=3 oIdx=0 buffer=1 iui=0
/* pack scheduling: packAIdx:10, packBIdx:2 */
v_perm_b32 v[vgprValuA_X0_I0+10], v[vgprValuA_X0_I0_D1+2], v[vgprValuA_X0_I0_D0+2], s[sgprPackKForV1] // select K=01 for vector=1
v_perm_b32 v[vgprValuA_X0_I0+11], v[vgprValuA_X0_I0_D3+2], v[vgprValuA_X0_I0_D2+2], s[sgprPackKForV1] // select K=23 for vector=1
v_mfma_f32_16x16x16_bf16 a[16+0:19+0], v[vgprValuB_X0_I0+0+0+0:vgprValuB_X0_I0+0+0+0+1], v[vgprValuA_X0_I0+8+0+0:vgprValuA_X0_I0+8+0+0+1], a[16:19]
/*  mfmaIndex:5  */
_ds_load_u16 v[vgprValuB_X1_I0+0], v[vgprLocalReadAddrB] offset:8448 // L -> Reg lro=4096 swapByteOffset=0 ti=32 vIdx=0 rIdx=0 oIdx=0 buffer=1 iui=0
/* pack scheduling: packAIdx:12, packBIdx:2 */
v_perm_b32 v[vgprValuA_X0_I0+12], v[vgprValuA_X0_I0_D1+3], v[vgprValuA_X0_I0_D0+3], s[sgprPackKForV0] // select K=01 for vector=0
v_perm_b32 v[vgprValuA_X0_I0+13], v[vgprValuA_X0_I0_D3+3], v[vgprValuA_X0_I0_D2+3], s[sgprPackKForV0] // select K=23 for vector=0
v_mfma_f32_16x16x16_bf16 a[20+0:23+0], v[vgprValuB_X0_I0+0+0+0:vgprValuB_X0_I0+0+0+0+1], v[vgprValuA_X0_I0+10+0+0:vgprValuA_X0_I0+10+0+0+1], a[20:23]
/*  mfmaIndex:6  */
_ds_load_u16_d16_hi v[vgprValuB_X1_I0_D1+0], v[vgprLocalReadAddrB] offset:8960 // L -> Reg lro=4096 swapByteOffset=0 ti=32 vIdx=0 rIdx=1 oIdx=0 buffer=1 iui=0
/* pack scheduling: packAIdx:14, packBIdx:2 */
v_perm_b32 v[vgprValuA_X0_I0+14], v[vgprValuA_X0_I0_D1+3], v[vgprValuA_X0_I0_D0+3], s[sgprPackKForV1] // select K=01 for vector=1
v_perm_b32 v[vgprValuA_X0_I0+15], v[vgprValuA_X0_I0_D3+3], v[vgprValuA_X0_I0_D2+3], s[sgprPackKForV1] // select K=23 for vector=1
v_mfma_f32_16x16x16_bf16 a[24+0:27+0], v[vgprValuB_X0_I0+0+0+0:vgprValuB_X0_I0+0+0+0+1], v[vgprValuA_X0_I0+12+0+0:vgprValuA_X0_I0+12+0+0+1], a[24:27]
/*  mfmaIndex:7  */
_ds_load_u16 v[vgprValuB_X1_I0+1], v[vgprLocalReadAddrB] offset:9472 // L -> Reg lro=4096 swapByteOffset=0 ti=32 vIdx=0 rIdx=2 oIdx=0 buffer=1 iui=0
/* pack scheduling: packAIdx:16, packBIdx:2 */
v_or_b32 v[vgprValuB_X0_I0+2], v[vgprValuB_X0_I0+2], v[vgprValuB_X0_I0_D1+2] // pack two half Vgpr to one Vgpr
v_or_b32 v[vgprValuB_X0_I0+3], v[vgprValuB_X0_I0+3], v[vgprValuB_X0_I0_D1+3] // pack two half Vgpr to one Vgpr
v_mfma_f32_16x16x16_bf16 a[28+0:31+0], v[vgprValuB_X0_I0+0+0+0:vgprValuB_X0_I0+0+0+0+1], v[vgprValuA_X0_I0+14+0+0:vgprValuA_X0_I0+14+0+0+1], a[28:31]
/*  mfmaIndex:8  */
_ds_load_u16_d16_hi v[vgprValuB_X1_I0_D1+1], v[vgprLocalReadAddrB] offset:9984 // L -> Reg lro=4096 swapByteOffset=0 ti=32 vIdx=0 rIdx=3 oIdx=0 buffer=1 iui=0
/* pack scheduling: packAIdx:16, packBIdx:4 */
v_or_b32 v[vgprValuB_X0_I0+4], v[vgprValuB_X0_I0+4], v[vgprValuB_X0_I0_D1+4] // pack two half Vgpr to one Vgpr
v_or_b32 v[vgprValuB_X0_I0+5], v[vgprValuB_X0_I0+5], v[vgprValuB_X0_I0_D1+5] // pack two half Vgpr to one Vgpr
v_mfma_f32_16x16x16_bf16 a[60+0:63+0], v[vgprValuB_X0_I0+2+0+0:vgprValuB_X0_I0+2+0+0+1], v[vgprValuA_X0_I0+14+0+0:vgprValuA_X0_I0+14+0+0+1], a[60:63]
/*  mfmaIndex:9  */
_ds_load_b32 v[vgprValuA_X1_I0_D0+1], v[vgprLocalReadAddrA] offset:8320 // L -> Reg lro=4096 swapByteOffset=0 ti=64 vIdx=1 rIdx=0 oIdx=0 buffer=1 iui=0
/* pack scheduling: packAIdx:16, packBIdx:4 */
v_or_b32 v[vgprValuB_X0_I0+6], v[vgprValuB_X0_I0+6], v[vgprValuB_X0_I0_D1+6] // pack two half Vgpr to one Vgpr
v_or_b32 v[vgprValuB_X0_I0+7], v[vgprValuB_X0_I0+7], v[vgprValuB_X0_I0_D1+7] // pack two half Vgpr to one Vgpr
v_mfma_f32_16x16x16_bf16 a[56+0:59+0], v[vgprValuB_X0_I0+2+0+0:vgprValuB_X0_I0+2+0+0+1], v[vgprValuA_X0_I0+12+0+0:vgprValuA_X0_I0+12+0+0+1], a[56:59]
/*  mfmaIndex:10  */
_ds_load_b32 v[vgprValuA_X1_I0_D1+1], v[vgprLocalReadAddrA] offset:8832 // L -> Reg lro=4096 swapByteOffset=0 ti=64 vIdx=1 rIdx=1 oIdx=0 buffer=1 iui=0
/* pack scheduling: packAIdx:16, packBIdx:4 */
v_or_b32 v[vgprValuB_X0_I0+8], v[vgprValuB_X0_I0+8], v[vgprValuB_X0_I0_D1+8] // pack two half Vgpr to one Vgpr
v_or_b32 v[vgprValuB_X0_I0+9], v[vgprValuB_X0_I0+9], v[vgprValuB_X0_I0_D1+9] // pack two half Vgpr to one Vgpr
v_mfma_f32_16x16x16_bf16 a[52+0:55+0], v[vgprValuB_X0_I0+2+0+0:vgprValuB_X0_I0+2+0+0+1], v[vgprValuA_X0_I0+10+0+0:vgprValuA_X0_I0+10+0+0+1], a[52:55]
/*  mfmaIndex:11  */
_ds_load_b32 v[vgprValuA_X1_I0_D2+1], v[vgprLocalReadAddrA] offset:9344 // L -> Reg lro=4096 swapByteOffset=0 ti=64 vIdx=1 rIdx=2 oIdx=0 buffer=1 iui=0
/* pack scheduling: packAIdx:16, packBIdx:4 */
v_or_b32 v[vgprValuB_X0_I0+10], v[vgprValuB_X0_I0+10], v[vgprValuB_X0_I0_D1+10] // pack two half Vgpr to one Vgpr
v_or_b32 v[vgprValuB_X0_I0+11], v[vgprValuB_X0_I0+11], v[vgprValuB_X0_I0_D1+11] // pack two half Vgpr to one Vgpr
v_mfma_f32_16x16x16_bf16 a[48+0:51+0], v[vgprValuB_X0_I0+2+0+0:vgprValuB_X0_I0+2+0+0+1], v[vgprValuA_X0_I0+8+0+0:vgprValuA_X0_I0+8+0+0+1], a[48:51]
/*  mfmaIndex:12  */
_ds_load_b32 v[vgprValuA_X1_I0_D3+1], v[vgprLocalReadAddrA] offset:9856 // L -> Reg lro=4096 swapByteOffset=0 ti=64 vIdx=1 rIdx=3 oIdx=0 buffer=1 iui=0
/* pack scheduling: packAIdx:16, packBIdx:4 */
v_or_b32 v[vgprValuB_X0_I0+12], v[vgprValuB_X0_I0+12], v[vgprValuB_X0_I0_D1+12] // pack two half Vgpr to one Vgpr
v_or_b32 v[vgprValuB_X0_I0+13], v[vgprValuB_X0_I0+13], v[vgprValuB_X0_I0_D1+13] // pack two half Vgpr to one Vgpr
v_mfma_f32_16x16x16_bf16 a[44+0:47+0], v[vgprValuB_X0_I0+2+0+0:vgprValuB_X0_I0+2+0+0+1], v[vgprValuA_X0_I0+6+0+0:vgprValuA_X0_I0+6+0+0+1], a[44:47]
/*  mfmaIndex:13  */
_ds_load_b32 v[vgprValuA_X1_I0_D0+2], v[vgprLocalReadAddrA] offset:8448 // L -> Reg lro=4096 swapByteOffset=0 ti=64 vIdx=2 rIdx=0 oIdx=0 buffer=1 iui=0
/* pack scheduling: packAIdx:16, packBIdx:4 */
v_or_b32 v[vgprValuB_X0_I0+14], v[vgprValuB_X0_I0+14], v[vgprValuB_X0_I0_D1+14] // pack two half Vgpr to one Vgpr
v_or_b32 v[vgprValuB_X0_I0+15], v[vgprValuB_X0_I0+15], v[vgprValuB_X0_I0_D1+15] // pack two half Vgpr to one Vgpr
v_mfma_f32_16x16x16_bf16 a[40+0:43+0], v[vgprValuB_X0_I0+2+0+0:vgprValuB_X0_I0+2+0+0+1], v[vgprValuA_X0_I0+4+0+0:vgprValuA_X0_I0+4+0+0+1], a[40:43]
/*  mfmaIndex:14  */
_ds_load_b32 v[vgprValuA_X1_I0_D1+2], v[vgprLocalReadAddrA] offset:8960 // L -> Reg lro=4096 swapByteOffset=0 ti=64 vIdx=2 rIdx=1 oIdx=0 buffer=1 iui=0
v_mfma_f32_16x16x16_bf16 a[36+0:39+0], v[vgprValuB_X0_I0+2+0+0:vgprValuB_X0_I0+2+0+0+1], v[vgprValuA_X0_I0+2+0+0:vgprValuA_X0_I0+2+0+0+1], a[36:39]
/*  mfmaIndex:15  */
_ds_load_b32 v[vgprValuA_X1_I0_D2+2], v[vgprLocalReadAddrA] offset:9472 // L -> Reg lro=4096 swapByteOffset=0 ti=64 vIdx=2 rIdx=2 oIdx=0 buffer=1 iui=0
v_mfma_f32_16x16x16_bf16 a[32+0:35+0], v[vgprValuB_X0_I0+2+0+0:vgprValuB_X0_I0+2+0+0+1], v[vgprValuA_X0_I0+0+0+0:vgprValuA_X0_I0+0+0+0+1], a[32:35]
/*  mfmaIndex:16  */
_ds_load_b32 v[vgprValuA_X1_I0_D3+2], v[vgprLocalReadAddrA] offset:9984 // L -> Reg lro=4096 swapByteOffset=0 ti=64 vIdx=2 rIdx=3 oIdx=0 buffer=1 iui=0
v_mfma_f32_16x16x16_bf16 a[64+0:67+0], v[vgprValuB_X0_I0+4+0+0:vgprValuB_X0_I0+4+0+0+1], v[vgprValuA_X0_I0+0+0+0:vgprValuA_X0_I0+0+0+0+1], a[64:67]
/*  mfmaIndex:17  */
_ds_load_b32 v[vgprValuA_X1_I0_D0+3], v[vgprLocalReadAddrA] offset:8576 // L -> Reg lro=4096 swapByteOffset=0 ti=64 vIdx=3 rIdx=0 oIdx=0 buffer=1 iui=0
v_mfma_f32_16x16x16_bf16 a[68+0:71+0], v[vgprValuB_X0_I0+4+0+0:vgprValuB_X0_I0+4+0+0+1], v[vgprValuA_X0_I0+2+0+0:vgprValuA_X0_I0+2+0+0+1], a[68:71]
/*  mfmaIndex:18  */
_ds_load_b32 v[vgprValuA_X1_I0_D1+3], v[vgprLocalReadAddrA] offset:9088 // L -> Reg lro=4096 swapByteOffset=0 ti=64 vIdx=3 rIdx=1 oIdx=0 buffer=1 iui=0
v_mfma_f32_16x16x16_bf16 a[72+0:75+0], v[vgprValuB_X0_I0+4+0+0:vgprValuB_X0_I0+4+0+0+1], v[vgprValuA_X0_I0+4+0+0:vgprValuA_X0_I0+4+0+0+1], a[72:75]
/*  mfmaIndex:19  */
_ds_load_b32 v[vgprValuA_X1_I0_D2+3], v[vgprLocalReadAddrA] offset:9600 // L -> Reg lro=4096 swapByteOffset=0 ti=64 vIdx=3 rIdx=2 oIdx=0 buffer=1 iui=0
v_mfma_f32_16x16x16_bf16 a[76+0:79+0], v[vgprValuB_X0_I0+4+0+0:vgprValuB_X0_I0+4+0+0+1], v[vgprValuA_X0_I0+6+0+0:vgprValuA_X0_I0+6+0+0+1], a[76:79]
/*  mfmaIndex:20  */
_ds_load_b32 v[vgprValuA_X1_I0_D3+3], v[vgprLocalReadAddrA] offset:10112 // L -> Reg lro=4096 swapByteOffset=0 ti=64 vIdx=3 rIdx=3 oIdx=0 buffer=1 iui=0
v_mfma_f32_16x16x16_bf16 a[80+0:83+0], v[vgprValuB_X0_I0+4+0+0:vgprValuB_X0_I0+4+0+0+1], v[vgprValuA_X0_I0+8+0+0:vgprValuA_X0_I0+8+0+0+1], a[80:83]
/*  mfmaIndex:21  */
_ds_load_u16 v[vgprValuB_X1_I0+2], v[vgprLocalReadAddrB] offset:8512 // L -> Reg lro=4096 swapByteOffset=0 ti=32 vIdx=1 rIdx=0 oIdx=0 buffer=1 iui=0
v_mfma_f32_16x16x16_bf16 a[84+0:87+0], v[vgprValuB_X0_I0+4+0+0:vgprValuB_X0_I0+4+0+0+1], v[vgprValuA_X0_I0+10+0+0:vgprValuA_X0_I0+10+0+0+1], a[84:87]
/*  mfmaIndex:22  */
_ds_load_u16_d16_hi v[vgprValuB_X1_I0_D1+2], v[vgprLocalReadAddrB] offset:9024 // L -> Reg lro=4096 swapByteOffset=0 ti=32 vIdx=1 rIdx=1 oIdx=0 buffer=1 iui=0
v_mfma_f32_16x16x16_bf16 a[88+0:91+0], v[vgprValuB_X0_I0+4+0+0:vgprValuB_X0_I0+4+0+0+1], v[vgprValuA_X0_I0+12+0+0:vgprValuA_X0_I0+12+0+0+1], a[88:91]
/*  mfmaIndex:23  */
_ds_load_u16 v[vgprValuB_X1_I0+3], v[vgprLocalReadAddrB] offset:9536 // L -> Reg lro=4096 swapByteOffset=0 ti=32 vIdx=1 rIdx=2 oIdx=0 buffer=1 iui=0
v_mfma_f32_16x16x16_bf16 a[92+0:95+0], v[vgprValuB_X0_I0+4+0+0:vgprValuB_X0_I0+4+0+0+1], v[vgprValuA_X0_I0+14+0+0:vgprValuA_X0_I0+14+0+0+1], a[92:95]
/*  mfmaIndex:24  */
_ds_load_u16_d16_hi v[vgprValuB_X1_I0_D1+3], v[vgprLocalReadAddrB] offset:10048 // L -> Reg lro=4096 swapByteOffset=0 ti=32 vIdx=1 rIdx=3 oIdx=0 buffer=1 iui=0
	;; [unrolled: 6-line block ×14, first 2 shown]
v_mfma_f32_16x16x16_bf16 a[192+0:195+0], v[vgprValuB_X0_I0+12+0+0:vgprValuB_X0_I0+12+0+0+1], v[vgprValuA_X0_I0+0+0+0:vgprValuA_X0_I0+0+0+0+1], a[192:195]
/*  mfmaIndex:49  */
/* localReadsVacancy: latencyLeft 2 */
v_mfma_f32_16x16x16_bf16 a[196+0:199+0], v[vgprValuB_X0_I0+12+0+0:vgprValuB_X0_I0+12+0+0+1], v[vgprValuA_X0_I0+2+0+0:vgprValuA_X0_I0+2+0+0+1], a[196:199]
/*  mfmaIndex:50  */
/* localReadsVacancy: latencyLeft 2 */
	;; [unrolled: 3-line block ×15, first 2 shown]
v_mfma_f32_16x16x16_bf16 a[224+0:227+0], v[vgprValuB_X0_I0+14+0+0:vgprValuB_X0_I0+14+0+0+1], v[vgprValuA_X0_I0+0+0+0:vgprValuA_X0_I0+0+0+0+1], a[224:227]
/* numPrefetchIter=0 */
/* dataAtIterA=-1 numReadsIterA=1 skipReadsIterA=1 readsPerIterA=16 */
/* dataAtIterB=-1 numReadsIterB=1 skipReadsIterB=1 readsPerIterB=32 */


/* iter 1 (last unrolled loop) */

/*  grEndMfmaIndex:0, lwStartMfmaIndex:75, lwEndMfmaIndex:75  */
/*  numMfmaForLR:50, barrierMfmaIndex:77, LocalWritePerMfma:0.310 */
/*  mfmaIndex:64  */
s_waitcnt lgkmcnt(0)                               // lgkmcnt=0 vmcnt=-1wait for prior local read local write old=0, new=0 newLW=0 newLR=0
/* pack scheduling: packAIdx:2, packBIdx:2 */
v_perm_b32 v[vgprValuA_X1_I0+0], v[vgprValuA_X1_I0_D1+0], v[vgprValuA_X1_I0_D0+0], s[sgprPackKForV0] // select K=01 for vector=0
v_perm_b32 v[vgprValuA_X1_I0+1], v[vgprValuA_X1_I0_D3+0], v[vgprValuA_X1_I0_D2+0], s[sgprPackKForV0] // select K=23 for vector=0
v_or_b32 v[vgprValuB_X1_I0+0], v[vgprValuB_X1_I0+0], v[vgprValuB_X1_I0_D1+0] // pack two half Vgpr to one Vgpr
v_or_b32 v[vgprValuB_X1_I0+1], v[vgprValuB_X1_I0+1], v[vgprValuB_X1_I0_D1+1] // pack two half Vgpr to one Vgpr
v_perm_b32 v[vgprValuA_X1_I0+2], v[vgprValuA_X1_I0_D1+0], v[vgprValuA_X1_I0_D0+0], s[sgprPackKForV1] // select K=01 for vector=1
v_perm_b32 v[vgprValuA_X1_I0+3], v[vgprValuA_X1_I0_D3+0], v[vgprValuA_X1_I0_D2+0], s[sgprPackKForV1] // select K=23 for vector=1
v_mfma_f32_16x16x16_bf16 a[0+0:3+0], v[vgprValuB_X1_I0+0+0+0:vgprValuB_X1_I0+0+0+0+1], v[vgprValuA_X1_I0+0+0+0:vgprValuA_X1_I0+0+0+0+1], a[0:3]
/*  mfmaIndex:65  */
/* pack scheduling: packAIdx:4, packBIdx:2 */
v_perm_b32 v[vgprValuA_X1_I0+4], v[vgprValuA_X1_I0_D1+1], v[vgprValuA_X1_I0_D0+1], s[sgprPackKForV0] // select K=01 for vector=0
v_perm_b32 v[vgprValuA_X1_I0+5], v[vgprValuA_X1_I0_D3+1], v[vgprValuA_X1_I0_D2+1], s[sgprPackKForV0] // select K=23 for vector=0
v_mfma_f32_16x16x16_bf16 a[4+0:7+0], v[vgprValuB_X1_I0+0+0+0:vgprValuB_X1_I0+0+0+0+1], v[vgprValuA_X1_I0+2+0+0:vgprValuA_X1_I0+2+0+0+1], a[4:7]
/*  mfmaIndex:66  */
/* pack scheduling: packAIdx:6, packBIdx:2 */
v_perm_b32 v[vgprValuA_X1_I0+6], v[vgprValuA_X1_I0_D1+1], v[vgprValuA_X1_I0_D0+1], s[sgprPackKForV1] // select K=01 for vector=1
v_perm_b32 v[vgprValuA_X1_I0+7], v[vgprValuA_X1_I0_D3+1], v[vgprValuA_X1_I0_D2+1], s[sgprPackKForV1] // select K=23 for vector=1
v_mfma_f32_16x16x16_bf16 a[8+0:11+0], v[vgprValuB_X1_I0+0+0+0:vgprValuB_X1_I0+0+0+0+1], v[vgprValuA_X1_I0+4+0+0:vgprValuA_X1_I0+4+0+0+1], a[8:11]
/*  mfmaIndex:67  */
/* pack scheduling: packAIdx:8, packBIdx:2 */
v_perm_b32 v[vgprValuA_X1_I0+8], v[vgprValuA_X1_I0_D1+2], v[vgprValuA_X1_I0_D0+2], s[sgprPackKForV0] // select K=01 for vector=0
v_perm_b32 v[vgprValuA_X1_I0+9], v[vgprValuA_X1_I0_D3+2], v[vgprValuA_X1_I0_D2+2], s[sgprPackKForV0] // select K=23 for vector=0
v_mfma_f32_16x16x16_bf16 a[12+0:15+0], v[vgprValuB_X1_I0+0+0+0:vgprValuB_X1_I0+0+0+0+1], v[vgprValuA_X1_I0+6+0+0:vgprValuA_X1_I0+6+0+0+1], a[12:15]
/*  mfmaIndex:68  */
/* pack scheduling: packAIdx:10, packBIdx:2 */
v_perm_b32 v[vgprValuA_X1_I0+10], v[vgprValuA_X1_I0_D1+2], v[vgprValuA_X1_I0_D0+2], s[sgprPackKForV1] // select K=01 for vector=1
v_perm_b32 v[vgprValuA_X1_I0+11], v[vgprValuA_X1_I0_D3+2], v[vgprValuA_X1_I0_D2+2], s[sgprPackKForV1] // select K=23 for vector=1
v_mfma_f32_16x16x16_bf16 a[16+0:19+0], v[vgprValuB_X1_I0+0+0+0:vgprValuB_X1_I0+0+0+0+1], v[vgprValuA_X1_I0+8+0+0:vgprValuA_X1_I0+8+0+0+1], a[16:19]
/*  mfmaIndex:69  */
/* pack scheduling: packAIdx:12, packBIdx:2 */
v_perm_b32 v[vgprValuA_X1_I0+12], v[vgprValuA_X1_I0_D1+3], v[vgprValuA_X1_I0_D0+3], s[sgprPackKForV0] // select K=01 for vector=0
v_perm_b32 v[vgprValuA_X1_I0+13], v[vgprValuA_X1_I0_D3+3], v[vgprValuA_X1_I0_D2+3], s[sgprPackKForV0] // select K=23 for vector=0
v_mfma_f32_16x16x16_bf16 a[20+0:23+0], v[vgprValuB_X1_I0+0+0+0:vgprValuB_X1_I0+0+0+0+1], v[vgprValuA_X1_I0+10+0+0:vgprValuA_X1_I0+10+0+0+1], a[20:23]
/*  mfmaIndex:70  */
/* pack scheduling: packAIdx:14, packBIdx:2 */
v_perm_b32 v[vgprValuA_X1_I0+14], v[vgprValuA_X1_I0_D1+3], v[vgprValuA_X1_I0_D0+3], s[sgprPackKForV1] // select K=01 for vector=1
v_perm_b32 v[vgprValuA_X1_I0+15], v[vgprValuA_X1_I0_D3+3], v[vgprValuA_X1_I0_D2+3], s[sgprPackKForV1] // select K=23 for vector=1
v_mfma_f32_16x16x16_bf16 a[24+0:27+0], v[vgprValuB_X1_I0+0+0+0:vgprValuB_X1_I0+0+0+0+1], v[vgprValuA_X1_I0+12+0+0:vgprValuA_X1_I0+12+0+0+1], a[24:27]
/*  mfmaIndex:71  */
/* pack scheduling: packAIdx:16, packBIdx:2 */
v_or_b32 v[vgprValuB_X1_I0+2], v[vgprValuB_X1_I0+2], v[vgprValuB_X1_I0_D1+2] // pack two half Vgpr to one Vgpr
v_or_b32 v[vgprValuB_X1_I0+3], v[vgprValuB_X1_I0+3], v[vgprValuB_X1_I0_D1+3] // pack two half Vgpr to one Vgpr
v_mfma_f32_16x16x16_bf16 a[28+0:31+0], v[vgprValuB_X1_I0+0+0+0:vgprValuB_X1_I0+0+0+0+1], v[vgprValuA_X1_I0+14+0+0:vgprValuA_X1_I0+14+0+0+1], a[28:31]
/*  mfmaIndex:72  */
/* pack scheduling: packAIdx:16, packBIdx:4 */
v_or_b32 v[vgprValuB_X1_I0+4], v[vgprValuB_X1_I0+4], v[vgprValuB_X1_I0_D1+4] // pack two half Vgpr to one Vgpr
v_or_b32 v[vgprValuB_X1_I0+5], v[vgprValuB_X1_I0+5], v[vgprValuB_X1_I0_D1+5] // pack two half Vgpr to one Vgpr
v_mfma_f32_16x16x16_bf16 a[60+0:63+0], v[vgprValuB_X1_I0+2+0+0:vgprValuB_X1_I0+2+0+0+1], v[vgprValuA_X1_I0+14+0+0:vgprValuA_X1_I0+14+0+0+1], a[60:63]
/*  mfmaIndex:73  */
/* pack scheduling: packAIdx:16, packBIdx:4 */
v_or_b32 v[vgprValuB_X1_I0+6], v[vgprValuB_X1_I0+6], v[vgprValuB_X1_I0_D1+6] // pack two half Vgpr to one Vgpr
v_or_b32 v[vgprValuB_X1_I0+7], v[vgprValuB_X1_I0+7], v[vgprValuB_X1_I0_D1+7] // pack two half Vgpr to one Vgpr
v_mfma_f32_16x16x16_bf16 a[56+0:59+0], v[vgprValuB_X1_I0+2+0+0:vgprValuB_X1_I0+2+0+0+1], v[vgprValuA_X1_I0+12+0+0:vgprValuA_X1_I0+12+0+0+1], a[56:59]
/*  mfmaIndex:74  */
/* 1 LDS buffer: read-sync-write */
s_waitcnt lgkmcnt(0)                               // 
s_barrier                                          // 
/* pack scheduling: packAIdx:16, packBIdx:4 */
v_or_b32 v[vgprValuB_X1_I0+8], v[vgprValuB_X1_I0+8], v[vgprValuB_X1_I0_D1+8] // pack two half Vgpr to one Vgpr
v_or_b32 v[vgprValuB_X1_I0+9], v[vgprValuB_X1_I0+9], v[vgprValuB_X1_I0_D1+9] // pack two half Vgpr to one Vgpr
v_mfma_f32_16x16x16_bf16 a[52+0:55+0], v[vgprValuB_X1_I0+2+0+0:vgprValuB_X1_I0+2+0+0+1], v[vgprValuA_X1_I0+10+0+0:vgprValuA_X1_I0+10+0+0+1], a[52:55]
/*  mfmaIndex:75  */
s_setprio 3                                        // store optimization
/* pack scheduling: packAIdx:16, packBIdx:4 */
v_or_b32 v[vgprValuB_X1_I0+10], v[vgprValuB_X1_I0+10], v[vgprValuB_X1_I0_D1+10] // pack two half Vgpr to one Vgpr
v_or_b32 v[vgprValuB_X1_I0+11], v[vgprValuB_X1_I0+11], v[vgprValuB_X1_I0_D1+11] // pack two half Vgpr to one Vgpr
v_mfma_f32_16x16x16_bf16 a[48+0:51+0], v[vgprValuB_X1_I0+2+0+0:vgprValuB_X1_I0+2+0+0+1], v[vgprValuA_X1_I0+8+0+0:vgprValuA_X1_I0+8+0+0+1], a[48:51]
/*  mfmaIndex:76  */
/* pack scheduling: packAIdx:16, packBIdx:4 */
v_or_b32 v[vgprValuB_X1_I0+12], v[vgprValuB_X1_I0+12], v[vgprValuB_X1_I0_D1+12] // pack two half Vgpr to one Vgpr
v_or_b32 v[vgprValuB_X1_I0+13], v[vgprValuB_X1_I0+13], v[vgprValuB_X1_I0_D1+13] // pack two half Vgpr to one Vgpr
v_mfma_f32_16x16x16_bf16 a[44+0:47+0], v[vgprValuB_X1_I0+2+0+0:vgprValuB_X1_I0+2+0+0+1], v[vgprValuA_X1_I0+6+0+0:vgprValuA_X1_I0+6+0+0+1], a[44:47]
s_setprio 0                                        // store optimization
/*  mfmaIndex:77  */
/* pack scheduling: packAIdx:16, packBIdx:4 */
v_or_b32 v[vgprValuB_X1_I0+14], v[vgprValuB_X1_I0+14], v[vgprValuB_X1_I0_D1+14] // pack two half Vgpr to one Vgpr
v_or_b32 v[vgprValuB_X1_I0+15], v[vgprValuB_X1_I0+15], v[vgprValuB_X1_I0_D1+15] // pack two half Vgpr to one Vgpr
v_mfma_f32_16x16x16_bf16 a[40+0:43+0], v[vgprValuB_X1_I0+2+0+0:vgprValuB_X1_I0+2+0+0+1], v[vgprValuA_X1_I0+4+0+0:vgprValuA_X1_I0+4+0+0+1], a[40:43]
/*  mfmaIndex:78  */
s_setprio 3                                        // store optimization
v_mfma_f32_16x16x16_bf16 a[36+0:39+0], v[vgprValuB_X1_I0+2+0+0:vgprValuB_X1_I0+2+0+0+1], v[vgprValuA_X1_I0+2+0+0:vgprValuA_X1_I0+2+0+0+1], a[36:39]
/*  mfmaIndex:79  */
v_mfma_f32_16x16x16_bf16 a[32+0:35+0], v[vgprValuB_X1_I0+2+0+0:vgprValuB_X1_I0+2+0+0+1], v[vgprValuA_X1_I0+0+0+0:vgprValuA_X1_I0+0+0+0+1], a[32:35]
/*  mfmaIndex:80  */
	;; [unrolled: 2-line block ×49, first 2 shown]
v_mfma_f32_16x16x16_bf16 a[224+0:227+0], v[vgprValuB_X1_I0+14+0+0:vgprValuB_X1_I0+14+0+0+1], v[vgprValuA_X1_I0+0+0+0:vgprValuA_X1_I0+0+0+0+1], a[224:227]
/* numPrefetchIter=0 */
/* dataAtIterA=0 numReadsIterA=1 skipReadsIterA=0 readsPerIterA=16 */
/* dataAtIterB=0 numReadsIterB=1 skipReadsIterB=0 readsPerIterB=32 */

/* Stores for OptNLL */
Summation_End_OptNLL_18:
s_setprio 0                                        // optimization store
/* endSummation: add vgpr [0...148) to pool */
.set NumFullBlocks, UNDEF
.set WgmRemainder1, UNDEF
.set MagicNumberWgmRemainder1, UNDEF
.set ScalarGlobalReadOffsetB, UNDEF

/* Mapping of Acc register -> C Vgpr register */
/* computeStoreVgprs */
v_lshrrev_b32 v4, 6, v[vgprSerial]                 // v4 = v[vgprSerial] / 64
v_and_b32 v1, 63, v[vgprSerial]                    // v1 = v[vgprSerial] % 64
v_lshrrev_b32 v1, 4, v1                            // v1 = v1 / 16
v_lshlrev_b32 v1, 0x2, v1                          // thread0 * continuous_output
v_lshrrev_b32 v5, 1, v4                            // v5 = v4 / 2
v_mul_lo_u32 v5, 0x10, v5                          // wave coordination offset 1
_v_add_lshl_u32 v1, v5, v1, 0                      // coordination 1 = vwb *(wave_id1 + tid1)
v_mul_lo_u32 v2, v1, s[sgprStrideC1J]              //  offset 1
v_mul_lo_u32 v3, v1, s[sgprStrideD1J]              //  offset 1
v_and_b32 v5, 1, v4                                // v5 = v4 % 2
v_mul_lo_u32 v5, 0x10, v5                          // wave coordination offset 0
v_and_b32 v0, 15, v[vgprSerial]                    // v0 = v[vgprSerial] % 16
_v_add_lshl_u32 v0, v5, v0, 1                      // coordination 0 = vwa *(wave_id0 + tid0)
s_mul_i32 s52, 256, s[sgprWorkGroup0]              // wgp0 * MT0
_v_add_u32 v0, s52, v0                             // coord 0 = (tid0/MI_m)*4 + waveG0*MIB_m + MT0*SG0
s_mul_i32 s52, 256, s[sgprWorkGroup1]              // wgp1 * MT1
_v_add_u32 v1, s52, v1                             // coord 1 = (tid0%MI_m) + waveG1*MIB_n + MT1*SG1
GW_B0_E0_21:

/* edge=0, allocate 2 sgpr. perBatchTmpS=2 perBatchMaskS=0 perElementMaskS=0 elementsPerBatch=120 */
/* optSingleColVgpr=1 optSharedColVgpr=0 optSGPRUsage=BufferLoad_Mask optSrdIncForRow=1 */

/******************************************/
/* Global Write Batch #0 (d1,d0,vc1,vc0) = */
/*    (0,0,0,0:vw2); (0,1,0,0:vw2); (0,2,0,0:vw2); (0,3,0,0:vw2); (0,0,1,0:vw2); (0,1,1,0:vw2); (0,2,1,0:vw2); (0,3,1,0:vw2); (0,0,2,0:vw2); (0,1,2,0:vw2); (0,2,2,0:vw2); (0,3,2,0:vw2); (0,0,3,0:vw2); (0,1,3,0:vw2); (0,2,3,0:vw2); (0,3,3,0:vw2); (1,0,0,0:vw2); (1,1,0,0:vw2); (1,2,0,0:vw2); (1,3,0,0:vw2); (1,0,1,0:vw2); (1,1,1,0:vw2); (1,2,1,0:vw2); (1,3,1,0:vw2); (1,0,2,0:vw2); (1,1,2,0:vw2); (1,2,2,0:vw2); (1,3,2,0:vw2); (1,0,3,0:vw2); (1,1,3,0:vw2); (1,2,3,0:vw2); (1,3,3,0:vw2); (2,0,0,0:vw2); (2,1,0,0:vw2); (2,2,0,0:vw2); (2,3,0,0:vw2); (2,0,1,0:vw2); (2,1,1,0:vw2); (2,2,1,0:vw2); (2,3,1,0:vw2); (2,0,2,0:vw2); (2,1,2,0:vw2); (2,2,2,0:vw2); (2,3,2,0:vw2); (2,0,3,0:vw2); (2,1,3,0:vw2); (2,2,3,0:vw2); (2,3,3,0:vw2); (3,0,0,0:vw2); (3,1,0,0:vw2); (3,2,0,0:vw2); (3,3,0,0:vw2); (3,0,1,0:vw2); (3,1,1,0:vw2); (3,2,1,0:vw2); (3,3,1,0:vw2); (3,0,2,0:vw2); (3,1,2,0:vw2); (3,2,2,0:vw2); (3,3,2,0:vw2); (3,0,3,0:vw2); (3,1,3,0:vw2); (3,2,3,0:vw2); (3,3,3,0:vw2); (4,0,0,0:vw2); (4,1,0,0:vw2); (4,2,0,0:vw2); (4,3,0,0:vw2); (4,0,1,0:vw2); (4,1,1,0:vw2); (4,2,1,0:vw2); (4,3,1,0:vw2); (4,0,2,0:vw2); (4,1,2,0:vw2); (4,2,2,0:vw2); (4,3,2,0:vw2); (4,0,3,0:vw2); (4,1,3,0:vw2); (4,2,3,0:vw2); (4,3,3,0:vw2); (5,0,0,0:vw2); (5,1,0,0:vw2); (5,2,0,0:vw2); (5,3,0,0:vw2); (5,0,1,0:vw2); (5,1,1,0:vw2); (5,2,1,0:vw2); (5,3,1,0:vw2); (5,0,2,0:vw2); (5,1,2,0:vw2); (5,2,2,0:vw2); (5,3,2,0:vw2); (5,0,3,0:vw2); (5,1,3,0:vw2); (5,2,3,0:vw2); (5,3,3,0:vw2); (6,0,0,0:vw2); (6,1,0,0:vw2); (6,2,0,0:vw2); (6,3,0,0:vw2); (6,0,1,0:vw2); (6,1,1,0:vw2); (6,2,1,0:vw2); (6,3,1,0:vw2); (6,0,2,0:vw2); (6,1,2,0:vw2); (6,2,2,0:vw2); (6,3,2,0:vw2); (6,0,3,0:vw2); (6,1,3,0:vw2); (6,2,3,0:vw2); (6,3,3,0:vw2); (7,0,0,0:vw2); (7,1,0,0:vw2); (7,2,0,0:vw2); (7,3,0,0:vw2); (7,0,1,0:vw2); (7,1,1,0:vw2); (7,2,1,0:vw2); (7,3,1,0:vw2) */
/******************************************/

/* calc coords, apply mask, and issue loads (if necessary) */
/* (d1,vc1,d0,vc0)=(0,0,0,0) */
/* (d1,vc1,d0,vc0)=(0,0,1,0) */
	;; [unrolled: 1-line block ×120, first 2 shown]
_v_add_lshl_u32 v10, v3, v0, 0x1                   // optSingleColVgpr scaleToBpe: sharedAddrVgpr <- cinRowPtr + coord0, scaled by BPE. BSHERE:coord0=0, coord0Vgpr=0
v_accvgpr_read_b32 v[vgprValuC+12], acc0 // copy acc to vreg[0]
v_accvgpr_read_b32 v[vgprValuC+13], acc4 // copy acc to vreg[1]
v_accvgpr_read_b32 v[vgprValuC+14], acc8 // copy acc to vreg[2]
v_accvgpr_read_b32 v[vgprValuC+15], acc12 // copy acc to vreg[3]
v_accvgpr_read_b32 v[vgprValuC+16], acc16 // copy acc to vreg[4]
v_accvgpr_read_b32 v[vgprValuC+17], acc20 // copy acc to vreg[5]
v_accvgpr_read_b32 v[vgprValuC+18], acc24 // copy acc to vreg[6]
v_accvgpr_read_b32 v[vgprValuC+19], acc28 // copy acc to vreg[7]
v_accvgpr_read_b32 v[vgprValuC+20], acc1 // copy acc to vreg[8]
v_accvgpr_read_b32 v[vgprValuC+21], acc5 // copy acc to vreg[9]
v_accvgpr_read_b32 v[vgprValuC+22], acc9 // copy acc to vreg[10]
v_accvgpr_read_b32 v[vgprValuC+23], acc13 // copy acc to vreg[11]
v_accvgpr_read_b32 v[vgprValuC+24], acc17 // copy acc to vreg[12]
v_accvgpr_read_b32 v[vgprValuC+25], acc21 // copy acc to vreg[13]
v_accvgpr_read_b32 v[vgprValuC+26], acc25 // copy acc to vreg[14]
v_accvgpr_read_b32 v[vgprValuC+27], acc29 // copy acc to vreg[15]
v_accvgpr_read_b32 v[vgprValuC+28], acc2 // copy acc to vreg[16]
v_accvgpr_read_b32 v[vgprValuC+29], acc6 // copy acc to vreg[17]
v_accvgpr_read_b32 v[vgprValuC+30], acc10 // copy acc to vreg[18]
v_accvgpr_read_b32 v[vgprValuC+31], acc14 // copy acc to vreg[19]
v_accvgpr_read_b32 v[vgprValuC+32], acc18 // copy acc to vreg[20]
v_accvgpr_read_b32 v[vgprValuC+33], acc22 // copy acc to vreg[21]
v_accvgpr_read_b32 v[vgprValuC+34], acc26 // copy acc to vreg[22]
v_accvgpr_read_b32 v[vgprValuC+35], acc30 // copy acc to vreg[23]
v_accvgpr_read_b32 v[vgprValuC+36], acc3 // copy acc to vreg[24]
v_accvgpr_read_b32 v[vgprValuC+37], acc7 // copy acc to vreg[25]
v_accvgpr_read_b32 v[vgprValuC+38], acc11 // copy acc to vreg[26]
v_accvgpr_read_b32 v[vgprValuC+39], acc15 // copy acc to vreg[27]
v_accvgpr_read_b32 v[vgprValuC+40], acc19 // copy acc to vreg[28]
v_accvgpr_read_b32 v[vgprValuC+41], acc23 // copy acc to vreg[29]
v_accvgpr_read_b32 v[vgprValuC+42], acc27 // copy acc to vreg[30]
v_accvgpr_read_b32 v[vgprValuC+43], acc31 // copy acc to vreg[31]
v_accvgpr_read_b32 v[vgprValuC+44], acc32 // copy acc to vreg[32]
v_accvgpr_read_b32 v[vgprValuC+45], acc36 // copy acc to vreg[33]
v_accvgpr_read_b32 v[vgprValuC+46], acc40 // copy acc to vreg[34]
v_accvgpr_read_b32 v[vgprValuC+47], acc44 // copy acc to vreg[35]
v_accvgpr_read_b32 v[vgprValuC+48], acc48 // copy acc to vreg[36]
v_accvgpr_read_b32 v[vgprValuC+49], acc52 // copy acc to vreg[37]
v_accvgpr_read_b32 v[vgprValuC+50], acc56 // copy acc to vreg[38]
v_accvgpr_read_b32 v[vgprValuC+51], acc60 // copy acc to vreg[39]
v_accvgpr_read_b32 v[vgprValuC+52], acc33 // copy acc to vreg[40]
v_accvgpr_read_b32 v[vgprValuC+53], acc37 // copy acc to vreg[41]
v_accvgpr_read_b32 v[vgprValuC+54], acc41 // copy acc to vreg[42]
v_accvgpr_read_b32 v[vgprValuC+55], acc45 // copy acc to vreg[43]
v_accvgpr_read_b32 v[vgprValuC+56], acc49 // copy acc to vreg[44]
v_accvgpr_read_b32 v[vgprValuC+57], acc53 // copy acc to vreg[45]
v_accvgpr_read_b32 v[vgprValuC+58], acc57 // copy acc to vreg[46]
v_accvgpr_read_b32 v[vgprValuC+59], acc61 // copy acc to vreg[47]
v_accvgpr_read_b32 v[vgprValuC+60], acc34 // copy acc to vreg[48]
v_accvgpr_read_b32 v[vgprValuC+61], acc38 // copy acc to vreg[49]
v_accvgpr_read_b32 v[vgprValuC+62], acc42 // copy acc to vreg[50]
v_accvgpr_read_b32 v[vgprValuC+63], acc46 // copy acc to vreg[51]
v_accvgpr_read_b32 v[vgprValuC+64], acc50 // copy acc to vreg[52]
v_accvgpr_read_b32 v[vgprValuC+65], acc54 // copy acc to vreg[53]
v_accvgpr_read_b32 v[vgprValuC+66], acc58 // copy acc to vreg[54]
v_accvgpr_read_b32 v[vgprValuC+67], acc62 // copy acc to vreg[55]
v_accvgpr_read_b32 v[vgprValuC+68], acc35 // copy acc to vreg[56]
v_accvgpr_read_b32 v[vgprValuC+69], acc39 // copy acc to vreg[57]
v_accvgpr_read_b32 v[vgprValuC+70], acc43 // copy acc to vreg[58]
v_accvgpr_read_b32 v[vgprValuC+71], acc47 // copy acc to vreg[59]
v_accvgpr_read_b32 v[vgprValuC+72], acc51 // copy acc to vreg[60]
v_accvgpr_read_b32 v[vgprValuC+73], acc55 // copy acc to vreg[61]
v_accvgpr_read_b32 v[vgprValuC+74], acc59 // copy acc to vreg[62]
v_accvgpr_read_b32 v[vgprValuC+75], acc63 // copy acc to vreg[63]
v_accvgpr_read_b32 v[vgprValuC+76], acc64 // copy acc to vreg[64]
v_accvgpr_read_b32 v[vgprValuC+77], acc68 // copy acc to vreg[65]
v_accvgpr_read_b32 v[vgprValuC+78], acc72 // copy acc to vreg[66]
v_accvgpr_read_b32 v[vgprValuC+79], acc76 // copy acc to vreg[67]
v_accvgpr_read_b32 v[vgprValuC+80], acc80 // copy acc to vreg[68]
v_accvgpr_read_b32 v[vgprValuC+81], acc84 // copy acc to vreg[69]
v_accvgpr_read_b32 v[vgprValuC+82], acc88 // copy acc to vreg[70]
v_accvgpr_read_b32 v[vgprValuC+83], acc92 // copy acc to vreg[71]
v_accvgpr_read_b32 v[vgprValuC+84], acc65 // copy acc to vreg[72]
v_accvgpr_read_b32 v[vgprValuC+85], acc69 // copy acc to vreg[73]
v_accvgpr_read_b32 v[vgprValuC+86], acc73 // copy acc to vreg[74]
v_accvgpr_read_b32 v[vgprValuC+87], acc77 // copy acc to vreg[75]
v_accvgpr_read_b32 v[vgprValuC+88], acc81 // copy acc to vreg[76]
v_accvgpr_read_b32 v[vgprValuC+89], acc85 // copy acc to vreg[77]
v_accvgpr_read_b32 v[vgprValuC+90], acc89 // copy acc to vreg[78]
v_accvgpr_read_b32 v[vgprValuC+91], acc93 // copy acc to vreg[79]
v_accvgpr_read_b32 v[vgprValuC+92], acc66 // copy acc to vreg[80]
v_accvgpr_read_b32 v[vgprValuC+93], acc70 // copy acc to vreg[81]
v_accvgpr_read_b32 v[vgprValuC+94], acc74 // copy acc to vreg[82]
v_accvgpr_read_b32 v[vgprValuC+95], acc78 // copy acc to vreg[83]
v_accvgpr_read_b32 v[vgprValuC+96], acc82 // copy acc to vreg[84]
v_accvgpr_read_b32 v[vgprValuC+97], acc86 // copy acc to vreg[85]
v_accvgpr_read_b32 v[vgprValuC+98], acc90 // copy acc to vreg[86]
v_accvgpr_read_b32 v[vgprValuC+99], acc94 // copy acc to vreg[87]
v_accvgpr_read_b32 v[vgprValuC+100], acc67 // copy acc to vreg[88]
v_accvgpr_read_b32 v[vgprValuC+101], acc71 // copy acc to vreg[89]
v_accvgpr_read_b32 v[vgprValuC+102], acc75 // copy acc to vreg[90]
v_accvgpr_read_b32 v[vgprValuC+103], acc79 // copy acc to vreg[91]
v_accvgpr_read_b32 v[vgprValuC+104], acc83 // copy acc to vreg[92]
v_accvgpr_read_b32 v[vgprValuC+105], acc87 // copy acc to vreg[93]
v_accvgpr_read_b32 v[vgprValuC+106], acc91 // copy acc to vreg[94]
v_accvgpr_read_b32 v[vgprValuC+107], acc95 // copy acc to vreg[95]
v_accvgpr_read_b32 v[vgprValuC+108], acc96 // copy acc to vreg[96]
v_accvgpr_read_b32 v[vgprValuC+109], acc100 // copy acc to vreg[97]
v_accvgpr_read_b32 v[vgprValuC+110], acc104 // copy acc to vreg[98]
v_accvgpr_read_b32 v[vgprValuC+111], acc108 // copy acc to vreg[99]
v_accvgpr_read_b32 v[vgprValuC+112], acc112 // copy acc to vreg[100]
v_accvgpr_read_b32 v[vgprValuC+113], acc116 // copy acc to vreg[101]
v_accvgpr_read_b32 v[vgprValuC+114], acc120 // copy acc to vreg[102]
v_accvgpr_read_b32 v[vgprValuC+115], acc124 // copy acc to vreg[103]
v_accvgpr_read_b32 v[vgprValuC+116], acc97 // copy acc to vreg[104]
v_accvgpr_read_b32 v[vgprValuC+117], acc101 // copy acc to vreg[105]
v_accvgpr_read_b32 v[vgprValuC+118], acc105 // copy acc to vreg[106]
v_accvgpr_read_b32 v[vgprValuC+119], acc109 // copy acc to vreg[107]
v_accvgpr_read_b32 v[vgprValuC+120], acc113 // copy acc to vreg[108]
v_accvgpr_read_b32 v[vgprValuC+121], acc117 // copy acc to vreg[109]
v_accvgpr_read_b32 v[vgprValuC+122], acc121 // copy acc to vreg[110]
v_accvgpr_read_b32 v[vgprValuC+123], acc125 // copy acc to vreg[111]
v_accvgpr_read_b32 v[vgprValuC+124], acc98 // copy acc to vreg[112]
v_accvgpr_read_b32 v[vgprValuC+125], acc102 // copy acc to vreg[113]
v_accvgpr_read_b32 v[vgprValuC+126], acc106 // copy acc to vreg[114]
v_accvgpr_read_b32 v[vgprValuC+127], acc110 // copy acc to vreg[115]
v_accvgpr_read_b32 v[vgprValuC+128], acc114 // copy acc to vreg[116]
v_accvgpr_read_b32 v[vgprValuC+129], acc118 // copy acc to vreg[117]
v_accvgpr_read_b32 v[vgprValuC+130], acc122 // copy acc to vreg[118]
v_accvgpr_read_b32 v[vgprValuC+131], acc126 // copy acc to vreg[119]
v_accvgpr_read_b32 v[vgprValuC+132], acc99 // copy acc to vreg[120]
v_accvgpr_read_b32 v[vgprValuC+133], acc103 // copy acc to vreg[121]
v_accvgpr_read_b32 v[vgprValuC+134], acc107 // copy acc to vreg[122]
v_accvgpr_read_b32 v[vgprValuC+135], acc111 // copy acc to vreg[123]
v_accvgpr_read_b32 v[vgprValuC+136], acc115 // copy acc to vreg[124]
v_accvgpr_read_b32 v[vgprValuC+137], acc119 // copy acc to vreg[125]
v_accvgpr_read_b32 v[vgprValuC+138], acc123 // copy acc to vreg[126]
v_accvgpr_read_b32 v[vgprValuC+139], acc127 // copy acc to vreg[127]
v_accvgpr_read_b32 v[vgprValuC+140], acc128 // copy acc to vreg[128]
v_accvgpr_read_b32 v[vgprValuC+141], acc132 // copy acc to vreg[129]
v_accvgpr_read_b32 v[vgprValuC+142], acc136 // copy acc to vreg[130]
v_accvgpr_read_b32 v[vgprValuC+143], acc140 // copy acc to vreg[131]
v_accvgpr_read_b32 v[vgprValuC+144], acc144 // copy acc to vreg[132]
v_accvgpr_read_b32 v[vgprValuC+145], acc148 // copy acc to vreg[133]
v_accvgpr_read_b32 v[vgprValuC+146], acc152 // copy acc to vreg[134]
v_accvgpr_read_b32 v[vgprValuC+147], acc156 // copy acc to vreg[135]
v_accvgpr_read_b32 v[vgprValuC+152], acc129 // copy acc to vreg[136]
v_accvgpr_read_b32 v[vgprValuC+153], acc133 // copy acc to vreg[137]
v_accvgpr_read_b32 v[vgprValuC+154], acc137 // copy acc to vreg[138]
v_accvgpr_read_b32 v[vgprValuC+155], acc141 // copy acc to vreg[139]
v_accvgpr_read_b32 v[vgprValuC+156], acc145 // copy acc to vreg[140]
v_accvgpr_read_b32 v[vgprValuC+157], acc149 // copy acc to vreg[141]
v_accvgpr_read_b32 v[vgprValuC+158], acc153 // copy acc to vreg[142]
v_accvgpr_read_b32 v[vgprValuC+159], acc157 // copy acc to vreg[143]
v_accvgpr_read_b32 v[vgprValuC+160], acc130 // copy acc to vreg[144]
v_accvgpr_read_b32 v[vgprValuC+161], acc134 // copy acc to vreg[145]
v_accvgpr_read_b32 v[vgprValuC+162], acc138 // copy acc to vreg[146]
v_accvgpr_read_b32 v[vgprValuC+163], acc142 // copy acc to vreg[147]
v_accvgpr_read_b32 v[vgprValuC+164], acc146 // copy acc to vreg[148]
v_accvgpr_read_b32 v[vgprValuC+165], acc150 // copy acc to vreg[149]
v_accvgpr_read_b32 v[vgprValuC+166], acc154 // copy acc to vreg[150]
v_accvgpr_read_b32 v[vgprValuC+167], acc158 // copy acc to vreg[151]
v_accvgpr_read_b32 v[vgprValuC+168], acc131 // copy acc to vreg[152]
v_accvgpr_read_b32 v[vgprValuC+169], acc135 // copy acc to vreg[153]
v_accvgpr_read_b32 v[vgprValuC+170], acc139 // copy acc to vreg[154]
v_accvgpr_read_b32 v[vgprValuC+171], acc143 // copy acc to vreg[155]
v_accvgpr_read_b32 v[vgprValuC+172], acc147 // copy acc to vreg[156]
v_accvgpr_read_b32 v[vgprValuC+173], acc151 // copy acc to vreg[157]
v_accvgpr_read_b32 v[vgprValuC+174], acc155 // copy acc to vreg[158]
v_accvgpr_read_b32 v[vgprValuC+175], acc159 // copy acc to vreg[159]
v_accvgpr_read_b32 v[vgprValuC+176], acc160 // copy acc to vreg[160]
v_accvgpr_read_b32 v[vgprValuC+177], acc164 // copy acc to vreg[161]
v_accvgpr_read_b32 v[vgprValuC+178], acc168 // copy acc to vreg[162]
v_accvgpr_read_b32 v[vgprValuC+179], acc172 // copy acc to vreg[163]
v_accvgpr_read_b32 v[vgprValuC+180], acc176 // copy acc to vreg[164]
v_accvgpr_read_b32 v[vgprValuC+181], acc180 // copy acc to vreg[165]
v_accvgpr_read_b32 v[vgprValuC+182], acc184 // copy acc to vreg[166]
v_accvgpr_read_b32 v[vgprValuC+183], acc188 // copy acc to vreg[167]
v_accvgpr_read_b32 v[vgprValuC+184], acc161 // copy acc to vreg[168]
v_accvgpr_read_b32 v[vgprValuC+185], acc165 // copy acc to vreg[169]
v_accvgpr_read_b32 v[vgprValuC+186], acc169 // copy acc to vreg[170]
v_accvgpr_read_b32 v[vgprValuC+187], acc173 // copy acc to vreg[171]
v_accvgpr_read_b32 v[vgprValuC+188], acc177 // copy acc to vreg[172]
v_accvgpr_read_b32 v[vgprValuC+189], acc181 // copy acc to vreg[173]
v_accvgpr_read_b32 v[vgprValuC+190], acc185 // copy acc to vreg[174]
v_accvgpr_read_b32 v[vgprValuC+191], acc189 // copy acc to vreg[175]
v_accvgpr_read_b32 v[vgprValuC+192], acc162 // copy acc to vreg[176]
v_accvgpr_read_b32 v[vgprValuC+193], acc166 // copy acc to vreg[177]
v_accvgpr_read_b32 v[vgprValuC+194], acc170 // copy acc to vreg[178]
v_accvgpr_read_b32 v[vgprValuC+195], acc174 // copy acc to vreg[179]
v_accvgpr_read_b32 v[vgprValuC+196], acc178 // copy acc to vreg[180]
v_accvgpr_read_b32 v[vgprValuC+197], acc182 // copy acc to vreg[181]
v_accvgpr_read_b32 v[vgprValuC+198], acc186 // copy acc to vreg[182]
v_accvgpr_read_b32 v[vgprValuC+199], acc190 // copy acc to vreg[183]
v_accvgpr_read_b32 v[vgprValuC+200], acc163 // copy acc to vreg[184]
v_accvgpr_read_b32 v[vgprValuC+201], acc167 // copy acc to vreg[185]
v_accvgpr_read_b32 v[vgprValuC+202], acc171 // copy acc to vreg[186]
v_accvgpr_read_b32 v[vgprValuC+203], acc175 // copy acc to vreg[187]
v_accvgpr_read_b32 v[vgprValuC+204], acc179 // copy acc to vreg[188]
v_accvgpr_read_b32 v[vgprValuC+205], acc183 // copy acc to vreg[189]
v_accvgpr_read_b32 v[vgprValuC+206], acc187 // copy acc to vreg[190]
v_accvgpr_read_b32 v[vgprValuC+207], acc191 // copy acc to vreg[191]
v_accvgpr_read_b32 v[vgprValuC+208], acc192 // copy acc to vreg[192]
v_accvgpr_read_b32 v[vgprValuC+209], acc196 // copy acc to vreg[193]
v_accvgpr_read_b32 v[vgprValuC+210], acc200 // copy acc to vreg[194]
v_accvgpr_read_b32 v[vgprValuC+211], acc204 // copy acc to vreg[195]
v_accvgpr_read_b32 v[vgprValuC+212], acc208 // copy acc to vreg[196]
v_accvgpr_read_b32 v[vgprValuC+213], acc212 // copy acc to vreg[197]
v_accvgpr_read_b32 v[vgprValuC+214], acc216 // copy acc to vreg[198]
v_accvgpr_read_b32 v[vgprValuC+215], acc220 // copy acc to vreg[199]
v_accvgpr_read_b32 v[vgprValuC+216], acc193 // copy acc to vreg[200]
v_accvgpr_read_b32 v[vgprValuC+217], acc197 // copy acc to vreg[201]
v_accvgpr_read_b32 v[vgprValuC+218], acc201 // copy acc to vreg[202]
v_accvgpr_read_b32 v[vgprValuC+219], acc205 // copy acc to vreg[203]
v_accvgpr_read_b32 v[vgprValuC+220], acc209 // copy acc to vreg[204]
v_accvgpr_read_b32 v[vgprValuC+221], acc213 // copy acc to vreg[205]
v_accvgpr_read_b32 v[vgprValuC+222], acc217 // copy acc to vreg[206]
v_accvgpr_read_b32 v[vgprValuC+223], acc221 // copy acc to vreg[207]
v_accvgpr_read_b32 v[vgprValuC+224], acc194 // copy acc to vreg[208]
v_accvgpr_read_b32 v[vgprValuC+225], acc198 // copy acc to vreg[209]
v_accvgpr_read_b32 v[vgprValuC+226], acc202 // copy acc to vreg[210]
v_accvgpr_read_b32 v[vgprValuC+227], acc206 // copy acc to vreg[211]
v_accvgpr_read_b32 v[vgprValuC+228], acc210 // copy acc to vreg[212]
v_accvgpr_read_b32 v[vgprValuC+229], acc214 // copy acc to vreg[213]
v_accvgpr_read_b32 v[vgprValuC+230], acc218 // copy acc to vreg[214]
v_accvgpr_read_b32 v[vgprValuC+231], acc222 // copy acc to vreg[215]
v_accvgpr_read_b32 v[vgprValuC+232], acc195 // copy acc to vreg[216]
v_accvgpr_read_b32 v[vgprValuC+233], acc199 // copy acc to vreg[217]
v_accvgpr_read_b32 v[vgprValuC+234], acc203 // copy acc to vreg[218]
v_accvgpr_read_b32 v[vgprValuC+235], acc207 // copy acc to vreg[219]
v_accvgpr_read_b32 v[vgprValuC+236], acc211 // copy acc to vreg[220]
v_accvgpr_read_b32 v[vgprValuC+237], acc215 // copy acc to vreg[221]
v_accvgpr_read_b32 v[vgprValuC+238], acc219 // copy acc to vreg[222]
v_accvgpr_read_b32 v[vgprValuC+239], acc223 // copy acc to vreg[223]
v_accvgpr_read_b32 v[vgprValuC+240], acc224 // copy acc to vreg[224]
v_accvgpr_read_b32 v[vgprValuC+241], acc228 // copy acc to vreg[225]
v_accvgpr_read_b32 v[vgprValuC+242], acc232 // copy acc to vreg[226]
v_accvgpr_read_b32 v[vgprValuC+243], acc236 // copy acc to vreg[227]
v_accvgpr_read_b32 v[vgprValuC+244], acc240 // copy acc to vreg[228]
v_accvgpr_read_b32 v[vgprValuC+245], acc244 // copy acc to vreg[229]
v_accvgpr_read_b32 v[vgprValuC+246], acc248 // copy acc to vreg[230]
v_accvgpr_read_b32 v[vgprValuC+247], acc252 // copy acc to vreg[231]
v_accvgpr_read_b32 v[vgprValuC+248], acc225 // copy acc to vreg[232]
v_accvgpr_read_b32 v[vgprValuC+249], acc229 // copy acc to vreg[233]
v_accvgpr_read_b32 v[vgprValuC+250], acc233 // copy acc to vreg[234]
v_accvgpr_read_b32 v[vgprValuC+251], acc237 // copy acc to vreg[235]
v_accvgpr_read_b32 v[vgprValuC+252], acc241 // copy acc to vreg[236]
v_accvgpr_read_b32 v[vgprValuC+253], acc245 // copy acc to vreg[237]
v_accvgpr_read_b32 v[vgprValuC+254], acc249 // copy acc to vreg[238]
v_accvgpr_read_b32 v[vgprValuC+255], acc253 // copy acc to vreg[239]
s_nop 1                                            // 2 wait states required before reading vgpr

/* apply mask, calc new C and issue writes */
v_mov_b32 v7, 0xffff0000                           // mask for pack two bfloat16 element to 32bit
v_mov_b32 v8, 0x7fff0000                           // fp32 Nan
v_mov_b32 v9, 0x7fff                               // rounding bias for bfloat16
v_cmp_u_f32 s[52:53], v[vgprValuC+12], v[vgprValuC+12] // check Nan
v_bfe_u32 v6, v[vgprValuC+12], 16, 1               // Non-Nan case: store lsb of bf16
v_add3_u32 v6, v[vgprValuC+12], v6, v9             // Non-Nan case: add lsb and the increment for rounding
v_cndmask_b32 v[vgprValuC+12], v6, v8, s[52:53]    // 
v_lshrrev_b32 v[vgprValuC+12], 16, v[vgprValuC+12] // convert C to bf16
v_cmp_u_f32 s[52:53], v[vgprValuC+13], v[vgprValuC+13] // check Nan
v_bfe_u32 v6, v[vgprValuC+13], 16, 1               // Non-Nan case: store lsb of bf16
v_add3_u32 v6, v[vgprValuC+13], v6, v9             // Non-Nan case: add lsb and the increment for rounding
v_cndmask_b32 v[vgprValuC+13], v6, v8, s[52:53]    // 
v_and_or_b32 v12, v[vgprValuC+13], v7, v[vgprValuC+12] // pack two bf16 to dword
_buffer_store_b32 v12, v10, s[sgprSrdD:sgprSrdD+3], 0, offen, offset:0,  sc0 sc1 // store D
v_cmp_u_f32 s[52:53], v[vgprValuC+14], v[vgprValuC+14] // check Nan
v_bfe_u32 v6, v[vgprValuC+14], 16, 1               // Non-Nan case: store lsb of bf16
v_add3_u32 v6, v[vgprValuC+14], v6, v9             // Non-Nan case: add lsb and the increment for rounding
v_cndmask_b32 v[vgprValuC+14], v6, v8, s[52:53]    // 
v_lshrrev_b32 v[vgprValuC+14], 16, v[vgprValuC+14] // convert C to bf16
v_cmp_u_f32 s[52:53], v[vgprValuC+15], v[vgprValuC+15] // check Nan
v_bfe_u32 v6, v[vgprValuC+15], 16, 1               // Non-Nan case: store lsb of bf16
v_add3_u32 v6, v[vgprValuC+15], v6, v9             // Non-Nan case: add lsb and the increment for rounding
v_cndmask_b32 v[vgprValuC+15], v6, v8, s[52:53]    // 
v_and_or_b32 v14, v[vgprValuC+15], v7, v[vgprValuC+14] // pack two bf16 to dword
_buffer_store_b32 v14, v10, s[sgprSrdD:sgprSrdD+3], 0, offen, offset:128,  sc0 sc1 // store D
	;; [unrolled: 11-line block ×4, first 2 shown]
v_cmp_u_f32 s[52:53], v[vgprValuC+20], v[vgprValuC+20] // check Nan
v_bfe_u32 v6, v[vgprValuC+20], 16, 1               // Non-Nan case: store lsb of bf16
v_add3_u32 v6, v[vgprValuC+20], v6, v9             // Non-Nan case: add lsb and the increment for rounding
v_cndmask_b32 v[vgprValuC+20], v6, v8, s[52:53]    // 
v_lshrrev_b32 v[vgprValuC+20], 16, v[vgprValuC+20] // convert C to bf16
v_cmp_u_f32 s[52:53], v[vgprValuC+21], v[vgprValuC+21] // check Nan
v_bfe_u32 v6, v[vgprValuC+21], 16, 1               // Non-Nan case: store lsb of bf16
v_add3_u32 v6, v[vgprValuC+21], v6, v9             // Non-Nan case: add lsb and the increment for rounding
v_cndmask_b32 v[vgprValuC+21], v6, v8, s[52:53]    // 
v_and_or_b32 v20, v[vgprValuC+21], v7, v[vgprValuC+20] // pack two bf16 to dword
s_lshl_b32  s52, s[sgprStrideD1J], 1               // incToNextRow: Scale by BPE
s_add_u32  s[sgprSrdD+0], s[sgprSrdD+0], s52       // incToNextRow: gra SRD += inc(lower)
s_addc_u32  s[sgprSrdD+1], s[sgprSrdD+1], 0        // incToNextRow: gra SRD += inc(upper)
_buffer_store_b32 v20, v10, s[sgprSrdD:sgprSrdD+3], 0, offen, offset:0,  sc0 sc1 // store D
v_cmp_u_f32 s[52:53], v[vgprValuC+22], v[vgprValuC+22] // check Nan
v_bfe_u32 v6, v[vgprValuC+22], 16, 1               // Non-Nan case: store lsb of bf16
v_add3_u32 v6, v[vgprValuC+22], v6, v9             // Non-Nan case: add lsb and the increment for rounding
v_cndmask_b32 v[vgprValuC+22], v6, v8, s[52:53]    // 
v_lshrrev_b32 v[vgprValuC+22], 16, v[vgprValuC+22] // convert C to bf16
v_cmp_u_f32 s[52:53], v[vgprValuC+23], v[vgprValuC+23] // check Nan
v_bfe_u32 v6, v[vgprValuC+23], 16, 1               // Non-Nan case: store lsb of bf16
v_add3_u32 v6, v[vgprValuC+23], v6, v9             // Non-Nan case: add lsb and the increment for rounding
v_cndmask_b32 v[vgprValuC+23], v6, v8, s[52:53]    // 
v_and_or_b32 v22, v[vgprValuC+23], v7, v[vgprValuC+22] // pack two bf16 to dword
_buffer_store_b32 v22, v10, s[sgprSrdD:sgprSrdD+3], 0, offen, offset:128,  sc0 sc1 // store D
v_cmp_u_f32 s[52:53], v[vgprValuC+24], v[vgprValuC+24] // check Nan
v_bfe_u32 v6, v[vgprValuC+24], 16, 1               // Non-Nan case: store lsb of bf16
v_add3_u32 v6, v[vgprValuC+24], v6, v9             // Non-Nan case: add lsb and the increment for rounding
v_cndmask_b32 v[vgprValuC+24], v6, v8, s[52:53]    // 
v_lshrrev_b32 v[vgprValuC+24], 16, v[vgprValuC+24] // convert C to bf16
v_cmp_u_f32 s[52:53], v[vgprValuC+25], v[vgprValuC+25] // check Nan
v_bfe_u32 v6, v[vgprValuC+25], 16, 1               // Non-Nan case: store lsb of bf16
v_add3_u32 v6, v[vgprValuC+25], v6, v9             // Non-Nan case: add lsb and the increment for rounding
v_cndmask_b32 v[vgprValuC+25], v6, v8, s[52:53]    // 
v_and_or_b32 v24, v[vgprValuC+25], v7, v[vgprValuC+24] // pack two bf16 to dword
_buffer_store_b32 v24, v10, s[sgprSrdD:sgprSrdD+3], 0, offen, offset:256,  sc0 sc1 // store D
v_cmp_u_f32 s[52:53], v[vgprValuC+26], v[vgprValuC+26] // check Nan
v_bfe_u32 v6, v[vgprValuC+26], 16, 1               // Non-Nan case: store lsb of bf16
v_add3_u32 v6, v[vgprValuC+26], v6, v9             // Non-Nan case: add lsb and the increment for rounding
v_cndmask_b32 v[vgprValuC+26], v6, v8, s[52:53]    // 
v_lshrrev_b32 v[vgprValuC+26], 16, v[vgprValuC+26] // convert C to bf16
v_cmp_u_f32 s[52:53], v[vgprValuC+27], v[vgprValuC+27] // check Nan
v_bfe_u32 v6, v[vgprValuC+27], 16, 1               // Non-Nan case: store lsb of bf16
v_add3_u32 v6, v[vgprValuC+27], v6, v9             // Non-Nan case: add lsb and the increment for rounding
v_cndmask_b32 v[vgprValuC+27], v6, v8, s[52:53]    // 
v_and_or_b32 v26, v[vgprValuC+27], v7, v[vgprValuC+26] // pack two bf16 to dword
_buffer_store_b32 v26, v10, s[sgprSrdD:sgprSrdD+3], 0, offen, offset:384,  sc0 sc1 // store D
v_cmp_u_f32 s[52:53], v[vgprValuC+28], v[vgprValuC+28] // check Nan
v_bfe_u32 v6, v[vgprValuC+28], 16, 1               // Non-Nan case: store lsb of bf16
v_add3_u32 v6, v[vgprValuC+28], v6, v9             // Non-Nan case: add lsb and the increment for rounding
v_cndmask_b32 v[vgprValuC+28], v6, v8, s[52:53]    // 
v_lshrrev_b32 v[vgprValuC+28], 16, v[vgprValuC+28] // convert C to bf16
v_cmp_u_f32 s[52:53], v[vgprValuC+29], v[vgprValuC+29] // check Nan
v_bfe_u32 v6, v[vgprValuC+29], 16, 1               // Non-Nan case: store lsb of bf16
v_add3_u32 v6, v[vgprValuC+29], v6, v9             // Non-Nan case: add lsb and the increment for rounding
v_cndmask_b32 v[vgprValuC+29], v6, v8, s[52:53]    // 
v_and_or_b32 v28, v[vgprValuC+29], v7, v[vgprValuC+28] // pack two bf16 to dword
s_lshl_b32  s52, s[sgprStrideD1J], 1               // incToNextRow: Scale by BPE
s_add_u32  s[sgprSrdD+0], s[sgprSrdD+0], s52       // incToNextRow: gra SRD += inc(lower)
s_addc_u32  s[sgprSrdD+1], s[sgprSrdD+1], 0        // incToNextRow: gra SRD += inc(upper)
_buffer_store_b32 v28, v10, s[sgprSrdD:sgprSrdD+3], 0, offen, offset:0,  sc0 sc1 // store D
v_cmp_u_f32 s[52:53], v[vgprValuC+30], v[vgprValuC+30] // check Nan
v_bfe_u32 v6, v[vgprValuC+30], 16, 1               // Non-Nan case: store lsb of bf16
v_add3_u32 v6, v[vgprValuC+30], v6, v9             // Non-Nan case: add lsb and the increment for rounding
v_cndmask_b32 v[vgprValuC+30], v6, v8, s[52:53]    // 
v_lshrrev_b32 v[vgprValuC+30], 16, v[vgprValuC+30] // convert C to bf16
v_cmp_u_f32 s[52:53], v[vgprValuC+31], v[vgprValuC+31] // check Nan
v_bfe_u32 v6, v[vgprValuC+31], 16, 1               // Non-Nan case: store lsb of bf16
v_add3_u32 v6, v[vgprValuC+31], v6, v9             // Non-Nan case: add lsb and the increment for rounding
v_cndmask_b32 v[vgprValuC+31], v6, v8, s[52:53]    // 
v_and_or_b32 v30, v[vgprValuC+31], v7, v[vgprValuC+30] // pack two bf16 to dword
_buffer_store_b32 v30, v10, s[sgprSrdD:sgprSrdD+3], 0, offen, offset:128,  sc0 sc1 // store D
v_cmp_u_f32 s[52:53], v[vgprValuC+32], v[vgprValuC+32] // check Nan
v_bfe_u32 v6, v[vgprValuC+32], 16, 1               // Non-Nan case: store lsb of bf16
v_add3_u32 v6, v[vgprValuC+32], v6, v9             // Non-Nan case: add lsb and the increment for rounding
v_cndmask_b32 v[vgprValuC+32], v6, v8, s[52:53]    // 
v_lshrrev_b32 v[vgprValuC+32], 16, v[vgprValuC+32] // convert C to bf16
v_cmp_u_f32 s[52:53], v[vgprValuC+33], v[vgprValuC+33] // check Nan
v_bfe_u32 v6, v[vgprValuC+33], 16, 1               // Non-Nan case: store lsb of bf16
v_add3_u32 v6, v[vgprValuC+33], v6, v9             // Non-Nan case: add lsb and the increment for rounding
v_cndmask_b32 v[vgprValuC+33], v6, v8, s[52:53]    // 
v_and_or_b32 v32, v[vgprValuC+33], v7, v[vgprValuC+32] // pack two bf16 to dword
_buffer_store_b32 v32, v10, s[sgprSrdD:sgprSrdD+3], 0, offen, offset:256,  sc0 sc1 // store D
v_cmp_u_f32 s[52:53], v[vgprValuC+34], v[vgprValuC+34] // check Nan
v_bfe_u32 v6, v[vgprValuC+34], 16, 1               // Non-Nan case: store lsb of bf16
v_add3_u32 v6, v[vgprValuC+34], v6, v9             // Non-Nan case: add lsb and the increment for rounding
v_cndmask_b32 v[vgprValuC+34], v6, v8, s[52:53]    // 
v_lshrrev_b32 v[vgprValuC+34], 16, v[vgprValuC+34] // convert C to bf16
v_cmp_u_f32 s[52:53], v[vgprValuC+35], v[vgprValuC+35] // check Nan
v_bfe_u32 v6, v[vgprValuC+35], 16, 1               // Non-Nan case: store lsb of bf16
v_add3_u32 v6, v[vgprValuC+35], v6, v9             // Non-Nan case: add lsb and the increment for rounding
v_cndmask_b32 v[vgprValuC+35], v6, v8, s[52:53]    // 
v_and_or_b32 v34, v[vgprValuC+35], v7, v[vgprValuC+34] // pack two bf16 to dword
_buffer_store_b32 v34, v10, s[sgprSrdD:sgprSrdD+3], 0, offen, offset:384,  sc0 sc1 // store D
	;; [unrolled: 47-line block ×3, first 2 shown]
v_cmp_u_f32 s[52:53], v[vgprValuC+44], v[vgprValuC+44] // check Nan
v_bfe_u32 v6, v[vgprValuC+44], 16, 1               // Non-Nan case: store lsb of bf16
v_add3_u32 v6, v[vgprValuC+44], v6, v9             // Non-Nan case: add lsb and the increment for rounding
v_cndmask_b32 v[vgprValuC+44], v6, v8, s[52:53]    // 
v_lshrrev_b32 v[vgprValuC+44], 16, v[vgprValuC+44] // convert C to bf16
v_cmp_u_f32 s[52:53], v[vgprValuC+45], v[vgprValuC+45] // check Nan
v_bfe_u32 v6, v[vgprValuC+45], 16, 1               // Non-Nan case: store lsb of bf16
v_add3_u32 v6, v[vgprValuC+45], v6, v9             // Non-Nan case: add lsb and the increment for rounding
v_cndmask_b32 v[vgprValuC+45], v6, v8, s[52:53]    // 
v_and_or_b32 v44, v[vgprValuC+45], v7, v[vgprValuC+44] // pack two bf16 to dword
s_mul_i32 s52, s[sgprStrideD1J], 58                // scale StrideD *= numRows(29) * bpe
s_add_u32  s[sgprSrdD+0], s[sgprSrdD+0], s52       // incToNextRow: gra SRD += inc(lower)
s_addc_u32  s[sgprSrdD+1], s[sgprSrdD+1], 0        // incToNextRow: gra SRD += inc(upper)
_buffer_store_b32 v44, v10, s[sgprSrdD:sgprSrdD+3], 0, offen, offset:0,  sc0 sc1 // store D
v_cmp_u_f32 s[52:53], v[vgprValuC+46], v[vgprValuC+46] // check Nan
v_bfe_u32 v6, v[vgprValuC+46], 16, 1               // Non-Nan case: store lsb of bf16
v_add3_u32 v6, v[vgprValuC+46], v6, v9             // Non-Nan case: add lsb and the increment for rounding
v_cndmask_b32 v[vgprValuC+46], v6, v8, s[52:53]    // 
v_lshrrev_b32 v[vgprValuC+46], 16, v[vgprValuC+46] // convert C to bf16
v_cmp_u_f32 s[52:53], v[vgprValuC+47], v[vgprValuC+47] // check Nan
v_bfe_u32 v6, v[vgprValuC+47], 16, 1               // Non-Nan case: store lsb of bf16
v_add3_u32 v6, v[vgprValuC+47], v6, v9             // Non-Nan case: add lsb and the increment for rounding
v_cndmask_b32 v[vgprValuC+47], v6, v8, s[52:53]    // 
v_and_or_b32 v46, v[vgprValuC+47], v7, v[vgprValuC+46] // pack two bf16 to dword
_buffer_store_b32 v46, v10, s[sgprSrdD:sgprSrdD+3], 0, offen, offset:128,  sc0 sc1 // store D
v_cmp_u_f32 s[52:53], v[vgprValuC+48], v[vgprValuC+48] // check Nan
v_bfe_u32 v6, v[vgprValuC+48], 16, 1               // Non-Nan case: store lsb of bf16
v_add3_u32 v6, v[vgprValuC+48], v6, v9             // Non-Nan case: add lsb and the increment for rounding
v_cndmask_b32 v[vgprValuC+48], v6, v8, s[52:53]    // 
v_lshrrev_b32 v[vgprValuC+48], 16, v[vgprValuC+48] // convert C to bf16
v_cmp_u_f32 s[52:53], v[vgprValuC+49], v[vgprValuC+49] // check Nan
v_bfe_u32 v6, v[vgprValuC+49], 16, 1               // Non-Nan case: store lsb of bf16
v_add3_u32 v6, v[vgprValuC+49], v6, v9             // Non-Nan case: add lsb and the increment for rounding
v_cndmask_b32 v[vgprValuC+49], v6, v8, s[52:53]    // 
v_and_or_b32 v48, v[vgprValuC+49], v7, v[vgprValuC+48] // pack two bf16 to dword
_buffer_store_b32 v48, v10, s[sgprSrdD:sgprSrdD+3], 0, offen, offset:256,  sc0 sc1 // store D
v_cmp_u_f32 s[52:53], v[vgprValuC+50], v[vgprValuC+50] // check Nan
v_bfe_u32 v6, v[vgprValuC+50], 16, 1               // Non-Nan case: store lsb of bf16
v_add3_u32 v6, v[vgprValuC+50], v6, v9             // Non-Nan case: add lsb and the increment for rounding
v_cndmask_b32 v[vgprValuC+50], v6, v8, s[52:53]    // 
v_lshrrev_b32 v[vgprValuC+50], 16, v[vgprValuC+50] // convert C to bf16
v_cmp_u_f32 s[52:53], v[vgprValuC+51], v[vgprValuC+51] // check Nan
v_bfe_u32 v6, v[vgprValuC+51], 16, 1               // Non-Nan case: store lsb of bf16
v_add3_u32 v6, v[vgprValuC+51], v6, v9             // Non-Nan case: add lsb and the increment for rounding
v_cndmask_b32 v[vgprValuC+51], v6, v8, s[52:53]    // 
v_and_or_b32 v50, v[vgprValuC+51], v7, v[vgprValuC+50] // pack two bf16 to dword
_buffer_store_b32 v50, v10, s[sgprSrdD:sgprSrdD+3], 0, offen, offset:384,  sc0 sc1 // store D
v_cmp_u_f32 s[52:53], v[vgprValuC+52], v[vgprValuC+52] // check Nan
v_bfe_u32 v6, v[vgprValuC+52], 16, 1               // Non-Nan case: store lsb of bf16
v_add3_u32 v6, v[vgprValuC+52], v6, v9             // Non-Nan case: add lsb and the increment for rounding
v_cndmask_b32 v[vgprValuC+52], v6, v8, s[52:53]    // 
v_lshrrev_b32 v[vgprValuC+52], 16, v[vgprValuC+52] // convert C to bf16
v_cmp_u_f32 s[52:53], v[vgprValuC+53], v[vgprValuC+53] // check Nan
v_bfe_u32 v6, v[vgprValuC+53], 16, 1               // Non-Nan case: store lsb of bf16
v_add3_u32 v6, v[vgprValuC+53], v6, v9             // Non-Nan case: add lsb and the increment for rounding
v_cndmask_b32 v[vgprValuC+53], v6, v8, s[52:53]    // 
v_and_or_b32 v52, v[vgprValuC+53], v7, v[vgprValuC+52] // pack two bf16 to dword
s_lshl_b32  s52, s[sgprStrideD1J], 1               // incToNextRow: Scale by BPE
s_add_u32  s[sgprSrdD+0], s[sgprSrdD+0], s52       // incToNextRow: gra SRD += inc(lower)
s_addc_u32  s[sgprSrdD+1], s[sgprSrdD+1], 0        // incToNextRow: gra SRD += inc(upper)
_buffer_store_b32 v52, v10, s[sgprSrdD:sgprSrdD+3], 0, offen, offset:0,  sc0 sc1 // store D
v_cmp_u_f32 s[52:53], v[vgprValuC+54], v[vgprValuC+54] // check Nan
v_bfe_u32 v6, v[vgprValuC+54], 16, 1               // Non-Nan case: store lsb of bf16
v_add3_u32 v6, v[vgprValuC+54], v6, v9             // Non-Nan case: add lsb and the increment for rounding
v_cndmask_b32 v[vgprValuC+54], v6, v8, s[52:53]    // 
v_lshrrev_b32 v[vgprValuC+54], 16, v[vgprValuC+54] // convert C to bf16
v_cmp_u_f32 s[52:53], v[vgprValuC+55], v[vgprValuC+55] // check Nan
v_bfe_u32 v6, v[vgprValuC+55], 16, 1               // Non-Nan case: store lsb of bf16
v_add3_u32 v6, v[vgprValuC+55], v6, v9             // Non-Nan case: add lsb and the increment for rounding
v_cndmask_b32 v[vgprValuC+55], v6, v8, s[52:53]    // 
v_and_or_b32 v54, v[vgprValuC+55], v7, v[vgprValuC+54] // pack two bf16 to dword
_buffer_store_b32 v54, v10, s[sgprSrdD:sgprSrdD+3], 0, offen, offset:128,  sc0 sc1 // store D
v_cmp_u_f32 s[52:53], v[vgprValuC+56], v[vgprValuC+56] // check Nan
v_bfe_u32 v6, v[vgprValuC+56], 16, 1               // Non-Nan case: store lsb of bf16
v_add3_u32 v6, v[vgprValuC+56], v6, v9             // Non-Nan case: add lsb and the increment for rounding
v_cndmask_b32 v[vgprValuC+56], v6, v8, s[52:53]    // 
v_lshrrev_b32 v[vgprValuC+56], 16, v[vgprValuC+56] // convert C to bf16
v_cmp_u_f32 s[52:53], v[vgprValuC+57], v[vgprValuC+57] // check Nan
v_bfe_u32 v6, v[vgprValuC+57], 16, 1               // Non-Nan case: store lsb of bf16
v_add3_u32 v6, v[vgprValuC+57], v6, v9             // Non-Nan case: add lsb and the increment for rounding
v_cndmask_b32 v[vgprValuC+57], v6, v8, s[52:53]    // 
v_and_or_b32 v56, v[vgprValuC+57], v7, v[vgprValuC+56] // pack two bf16 to dword
_buffer_store_b32 v56, v10, s[sgprSrdD:sgprSrdD+3], 0, offen, offset:256,  sc0 sc1 // store D
v_cmp_u_f32 s[52:53], v[vgprValuC+58], v[vgprValuC+58] // check Nan
v_bfe_u32 v6, v[vgprValuC+58], 16, 1               // Non-Nan case: store lsb of bf16
v_add3_u32 v6, v[vgprValuC+58], v6, v9             // Non-Nan case: add lsb and the increment for rounding
v_cndmask_b32 v[vgprValuC+58], v6, v8, s[52:53]    // 
v_lshrrev_b32 v[vgprValuC+58], 16, v[vgprValuC+58] // convert C to bf16
v_cmp_u_f32 s[52:53], v[vgprValuC+59], v[vgprValuC+59] // check Nan
v_bfe_u32 v6, v[vgprValuC+59], 16, 1               // Non-Nan case: store lsb of bf16
v_add3_u32 v6, v[vgprValuC+59], v6, v9             // Non-Nan case: add lsb and the increment for rounding
v_cndmask_b32 v[vgprValuC+59], v6, v8, s[52:53]    // 
v_and_or_b32 v58, v[vgprValuC+59], v7, v[vgprValuC+58] // pack two bf16 to dword
_buffer_store_b32 v58, v10, s[sgprSrdD:sgprSrdD+3], 0, offen, offset:384,  sc0 sc1 // store D
v_cmp_u_f32 s[52:53], v[vgprValuC+60], v[vgprValuC+60] // check Nan
v_bfe_u32 v6, v[vgprValuC+60], 16, 1               // Non-Nan case: store lsb of bf16
v_add3_u32 v6, v[vgprValuC+60], v6, v9             // Non-Nan case: add lsb and the increment for rounding
v_cndmask_b32 v[vgprValuC+60], v6, v8, s[52:53]    // 
v_lshrrev_b32 v[vgprValuC+60], 16, v[vgprValuC+60] // convert C to bf16
v_cmp_u_f32 s[52:53], v[vgprValuC+61], v[vgprValuC+61] // check Nan
v_bfe_u32 v6, v[vgprValuC+61], 16, 1               // Non-Nan case: store lsb of bf16
v_add3_u32 v6, v[vgprValuC+61], v6, v9             // Non-Nan case: add lsb and the increment for rounding
v_cndmask_b32 v[vgprValuC+61], v6, v8, s[52:53]    // 
v_and_or_b32 v60, v[vgprValuC+61], v7, v[vgprValuC+60] // pack two bf16 to dword
s_lshl_b32  s52, s[sgprStrideD1J], 1               // incToNextRow: Scale by BPE
	;; [unrolled: 47-line block ×3, first 2 shown]
s_add_u32  s[sgprSrdD+0], s[sgprSrdD+0], s52       // incToNextRow: gra SRD += inc(lower)
s_addc_u32  s[sgprSrdD+1], s[sgprSrdD+1], 0        // incToNextRow: gra SRD += inc(upper)
_buffer_store_b32 v68, v10, s[sgprSrdD:sgprSrdD+3], 0, offen, offset:0,  sc0 sc1 // store D
v_cmp_u_f32 s[52:53], v[vgprValuC+70], v[vgprValuC+70] // check Nan
v_bfe_u32 v6, v[vgprValuC+70], 16, 1               // Non-Nan case: store lsb of bf16
v_add3_u32 v6, v[vgprValuC+70], v6, v9             // Non-Nan case: add lsb and the increment for rounding
v_cndmask_b32 v[vgprValuC+70], v6, v8, s[52:53]    // 
v_lshrrev_b32 v[vgprValuC+70], 16, v[vgprValuC+70] // convert C to bf16
v_cmp_u_f32 s[52:53], v[vgprValuC+71], v[vgprValuC+71] // check Nan
v_bfe_u32 v6, v[vgprValuC+71], 16, 1               // Non-Nan case: store lsb of bf16
v_add3_u32 v6, v[vgprValuC+71], v6, v9             // Non-Nan case: add lsb and the increment for rounding
v_cndmask_b32 v[vgprValuC+71], v6, v8, s[52:53]    // 
v_and_or_b32 v70, v[vgprValuC+71], v7, v[vgprValuC+70] // pack two bf16 to dword
_buffer_store_b32 v70, v10, s[sgprSrdD:sgprSrdD+3], 0, offen, offset:128,  sc0 sc1 // store D
v_cmp_u_f32 s[52:53], v[vgprValuC+72], v[vgprValuC+72] // check Nan
v_bfe_u32 v6, v[vgprValuC+72], 16, 1               // Non-Nan case: store lsb of bf16
v_add3_u32 v6, v[vgprValuC+72], v6, v9             // Non-Nan case: add lsb and the increment for rounding
v_cndmask_b32 v[vgprValuC+72], v6, v8, s[52:53]    // 
v_lshrrev_b32 v[vgprValuC+72], 16, v[vgprValuC+72] // convert C to bf16
v_cmp_u_f32 s[52:53], v[vgprValuC+73], v[vgprValuC+73] // check Nan
v_bfe_u32 v6, v[vgprValuC+73], 16, 1               // Non-Nan case: store lsb of bf16
v_add3_u32 v6, v[vgprValuC+73], v6, v9             // Non-Nan case: add lsb and the increment for rounding
v_cndmask_b32 v[vgprValuC+73], v6, v8, s[52:53]    // 
v_and_or_b32 v72, v[vgprValuC+73], v7, v[vgprValuC+72] // pack two bf16 to dword
	;; [unrolled: 11-line block ×4, first 2 shown]
s_mul_i32 s52, s[sgprStrideD1J], 58                // scale StrideD *= numRows(29) * bpe
s_add_u32  s[sgprSrdD+0], s[sgprSrdD+0], s52       // incToNextRow: gra SRD += inc(lower)
s_addc_u32  s[sgprSrdD+1], s[sgprSrdD+1], 0        // incToNextRow: gra SRD += inc(upper)
_buffer_store_b32 v76, v10, s[sgprSrdD:sgprSrdD+3], 0, offen, offset:0,  sc0 sc1 // store D
v_cmp_u_f32 s[52:53], v[vgprValuC+78], v[vgprValuC+78] // check Nan
v_bfe_u32 v6, v[vgprValuC+78], 16, 1               // Non-Nan case: store lsb of bf16
v_add3_u32 v6, v[vgprValuC+78], v6, v9             // Non-Nan case: add lsb and the increment for rounding
v_cndmask_b32 v[vgprValuC+78], v6, v8, s[52:53]    // 
v_lshrrev_b32 v[vgprValuC+78], 16, v[vgprValuC+78] // convert C to bf16
v_cmp_u_f32 s[52:53], v[vgprValuC+79], v[vgprValuC+79] // check Nan
v_bfe_u32 v6, v[vgprValuC+79], 16, 1               // Non-Nan case: store lsb of bf16
v_add3_u32 v6, v[vgprValuC+79], v6, v9             // Non-Nan case: add lsb and the increment for rounding
v_cndmask_b32 v[vgprValuC+79], v6, v8, s[52:53]    // 
v_and_or_b32 v78, v[vgprValuC+79], v7, v[vgprValuC+78] // pack two bf16 to dword
_buffer_store_b32 v78, v10, s[sgprSrdD:sgprSrdD+3], 0, offen, offset:128,  sc0 sc1 // store D
v_cmp_u_f32 s[52:53], v[vgprValuC+80], v[vgprValuC+80] // check Nan
v_bfe_u32 v6, v[vgprValuC+80], 16, 1               // Non-Nan case: store lsb of bf16
v_add3_u32 v6, v[vgprValuC+80], v6, v9             // Non-Nan case: add lsb and the increment for rounding
v_cndmask_b32 v[vgprValuC+80], v6, v8, s[52:53]    // 
v_lshrrev_b32 v[vgprValuC+80], 16, v[vgprValuC+80] // convert C to bf16
v_cmp_u_f32 s[52:53], v[vgprValuC+81], v[vgprValuC+81] // check Nan
v_bfe_u32 v6, v[vgprValuC+81], 16, 1               // Non-Nan case: store lsb of bf16
v_add3_u32 v6, v[vgprValuC+81], v6, v9             // Non-Nan case: add lsb and the increment for rounding
v_cndmask_b32 v[vgprValuC+81], v6, v8, s[52:53]    // 
v_and_or_b32 v80, v[vgprValuC+81], v7, v[vgprValuC+80] // pack two bf16 to dword
	;; [unrolled: 11-line block ×4, first 2 shown]
s_lshl_b32  s52, s[sgprStrideD1J], 1               // incToNextRow: Scale by BPE
s_add_u32  s[sgprSrdD+0], s[sgprSrdD+0], s52       // incToNextRow: gra SRD += inc(lower)
s_addc_u32  s[sgprSrdD+1], s[sgprSrdD+1], 0        // incToNextRow: gra SRD += inc(upper)
_buffer_store_b32 v84, v10, s[sgprSrdD:sgprSrdD+3], 0, offen, offset:0,  sc0 sc1 // store D
v_cmp_u_f32 s[52:53], v[vgprValuC+86], v[vgprValuC+86] // check Nan
v_bfe_u32 v6, v[vgprValuC+86], 16, 1               // Non-Nan case: store lsb of bf16
v_add3_u32 v6, v[vgprValuC+86], v6, v9             // Non-Nan case: add lsb and the increment for rounding
v_cndmask_b32 v[vgprValuC+86], v6, v8, s[52:53]    // 
v_lshrrev_b32 v[vgprValuC+86], 16, v[vgprValuC+86] // convert C to bf16
v_cmp_u_f32 s[52:53], v[vgprValuC+87], v[vgprValuC+87] // check Nan
v_bfe_u32 v6, v[vgprValuC+87], 16, 1               // Non-Nan case: store lsb of bf16
v_add3_u32 v6, v[vgprValuC+87], v6, v9             // Non-Nan case: add lsb and the increment for rounding
v_cndmask_b32 v[vgprValuC+87], v6, v8, s[52:53]    // 
v_and_or_b32 v86, v[vgprValuC+87], v7, v[vgprValuC+86] // pack two bf16 to dword
_buffer_store_b32 v86, v10, s[sgprSrdD:sgprSrdD+3], 0, offen, offset:128,  sc0 sc1 // store D
v_cmp_u_f32 s[52:53], v[vgprValuC+88], v[vgprValuC+88] // check Nan
v_bfe_u32 v6, v[vgprValuC+88], 16, 1               // Non-Nan case: store lsb of bf16
v_add3_u32 v6, v[vgprValuC+88], v6, v9             // Non-Nan case: add lsb and the increment for rounding
v_cndmask_b32 v[vgprValuC+88], v6, v8, s[52:53]    // 
v_lshrrev_b32 v[vgprValuC+88], 16, v[vgprValuC+88] // convert C to bf16
v_cmp_u_f32 s[52:53], v[vgprValuC+89], v[vgprValuC+89] // check Nan
v_bfe_u32 v6, v[vgprValuC+89], 16, 1               // Non-Nan case: store lsb of bf16
v_add3_u32 v6, v[vgprValuC+89], v6, v9             // Non-Nan case: add lsb and the increment for rounding
v_cndmask_b32 v[vgprValuC+89], v6, v8, s[52:53]    // 
v_and_or_b32 v88, v[vgprValuC+89], v7, v[vgprValuC+88] // pack two bf16 to dword
	;; [unrolled: 11-line block ×4, first 2 shown]
s_lshl_b32  s52, s[sgprStrideD1J], 1               // incToNextRow: Scale by BPE
s_add_u32  s[sgprSrdD+0], s[sgprSrdD+0], s52       // incToNextRow: gra SRD += inc(lower)
s_addc_u32  s[sgprSrdD+1], s[sgprSrdD+1], 0        // incToNextRow: gra SRD += inc(upper)
_buffer_store_b32 v92, v10, s[sgprSrdD:sgprSrdD+3], 0, offen, offset:0,  sc0 sc1 // store D
v_cmp_u_f32 s[52:53], v[vgprValuC+94], v[vgprValuC+94] // check Nan
v_bfe_u32 v6, v[vgprValuC+94], 16, 1               // Non-Nan case: store lsb of bf16
v_add3_u32 v6, v[vgprValuC+94], v6, v9             // Non-Nan case: add lsb and the increment for rounding
v_cndmask_b32 v[vgprValuC+94], v6, v8, s[52:53]    // 
v_lshrrev_b32 v[vgprValuC+94], 16, v[vgprValuC+94] // convert C to bf16
v_cmp_u_f32 s[52:53], v[vgprValuC+95], v[vgprValuC+95] // check Nan
v_bfe_u32 v6, v[vgprValuC+95], 16, 1               // Non-Nan case: store lsb of bf16
v_add3_u32 v6, v[vgprValuC+95], v6, v9             // Non-Nan case: add lsb and the increment for rounding
v_cndmask_b32 v[vgprValuC+95], v6, v8, s[52:53]    // 
v_and_or_b32 v94, v[vgprValuC+95], v7, v[vgprValuC+94] // pack two bf16 to dword
_buffer_store_b32 v94, v10, s[sgprSrdD:sgprSrdD+3], 0, offen, offset:128,  sc0 sc1 // store D
v_cmp_u_f32 s[52:53], v[vgprValuC+96], v[vgprValuC+96] // check Nan
v_bfe_u32 v6, v[vgprValuC+96], 16, 1               // Non-Nan case: store lsb of bf16
v_add3_u32 v6, v[vgprValuC+96], v6, v9             // Non-Nan case: add lsb and the increment for rounding
v_cndmask_b32 v[vgprValuC+96], v6, v8, s[52:53]    // 
v_lshrrev_b32 v[vgprValuC+96], 16, v[vgprValuC+96] // convert C to bf16
v_cmp_u_f32 s[52:53], v[vgprValuC+97], v[vgprValuC+97] // check Nan
v_bfe_u32 v6, v[vgprValuC+97], 16, 1               // Non-Nan case: store lsb of bf16
v_add3_u32 v6, v[vgprValuC+97], v6, v9             // Non-Nan case: add lsb and the increment for rounding
v_cndmask_b32 v[vgprValuC+97], v6, v8, s[52:53]    // 
v_and_or_b32 v96, v[vgprValuC+97], v7, v[vgprValuC+96] // pack two bf16 to dword
	;; [unrolled: 11-line block ×3, first 2 shown]
_buffer_store_b32 v98, v10, s[sgprSrdD:sgprSrdD+3], 0, offen, offset:384,  sc0 sc1 // store D
v_cmp_u_f32 s[52:53], v[vgprValuC+100], v[vgprValuC+100] // check Nan
v_bfe_u32 v6, v[vgprValuC+100], 16, 1              // Non-Nan case: store lsb of bf16
v_add3_u32 v6, v[vgprValuC+100], v6, v9            // Non-Nan case: add lsb and the increment for rounding
v_cndmask_b32 v[vgprValuC+100], v6, v8, s[52:53]   // 
v_lshrrev_b32 v[vgprValuC+100], 16, v[vgprValuC+100] // convert C to bf16
v_cmp_u_f32 s[52:53], v[vgprValuC+101], v[vgprValuC+101] // check Nan
v_bfe_u32 v6, v[vgprValuC+101], 16, 1              // Non-Nan case: store lsb of bf16
v_add3_u32 v6, v[vgprValuC+101], v6, v9            // Non-Nan case: add lsb and the increment for rounding
v_cndmask_b32 v[vgprValuC+101], v6, v8, s[52:53]   // 
v_and_or_b32 v100, v[vgprValuC+101], v7, v[vgprValuC+100] // pack two bf16 to dword
s_lshl_b32  s52, s[sgprStrideD1J], 1               // incToNextRow: Scale by BPE
s_add_u32  s[sgprSrdD+0], s[sgprSrdD+0], s52       // incToNextRow: gra SRD += inc(lower)
s_addc_u32  s[sgprSrdD+1], s[sgprSrdD+1], 0        // incToNextRow: gra SRD += inc(upper)
_buffer_store_b32 v100, v10, s[sgprSrdD:sgprSrdD+3], 0, offen, offset:0,  sc0 sc1 // store D
v_cmp_u_f32 s[52:53], v[vgprValuC+102], v[vgprValuC+102] // check Nan
v_bfe_u32 v6, v[vgprValuC+102], 16, 1              // Non-Nan case: store lsb of bf16
v_add3_u32 v6, v[vgprValuC+102], v6, v9            // Non-Nan case: add lsb and the increment for rounding
v_cndmask_b32 v[vgprValuC+102], v6, v8, s[52:53]   // 
v_lshrrev_b32 v[vgprValuC+102], 16, v[vgprValuC+102] // convert C to bf16
v_cmp_u_f32 s[52:53], v[vgprValuC+103], v[vgprValuC+103] // check Nan
v_bfe_u32 v6, v[vgprValuC+103], 16, 1              // Non-Nan case: store lsb of bf16
v_add3_u32 v6, v[vgprValuC+103], v6, v9            // Non-Nan case: add lsb and the increment for rounding
v_cndmask_b32 v[vgprValuC+103], v6, v8, s[52:53]   // 
v_and_or_b32 v102, v[vgprValuC+103], v7, v[vgprValuC+102] // pack two bf16 to dword
_buffer_store_b32 v102, v10, s[sgprSrdD:sgprSrdD+3], 0, offen, offset:128,  sc0 sc1 // store D
v_cmp_u_f32 s[52:53], v[vgprValuC+104], v[vgprValuC+104] // check Nan
v_bfe_u32 v6, v[vgprValuC+104], 16, 1              // Non-Nan case: store lsb of bf16
v_add3_u32 v6, v[vgprValuC+104], v6, v9            // Non-Nan case: add lsb and the increment for rounding
v_cndmask_b32 v[vgprValuC+104], v6, v8, s[52:53]   // 
v_lshrrev_b32 v[vgprValuC+104], 16, v[vgprValuC+104] // convert C to bf16
v_cmp_u_f32 s[52:53], v[vgprValuC+105], v[vgprValuC+105] // check Nan
v_bfe_u32 v6, v[vgprValuC+105], 16, 1              // Non-Nan case: store lsb of bf16
v_add3_u32 v6, v[vgprValuC+105], v6, v9            // Non-Nan case: add lsb and the increment for rounding
v_cndmask_b32 v[vgprValuC+105], v6, v8, s[52:53]   // 
v_and_or_b32 v104, v[vgprValuC+105], v7, v[vgprValuC+104] // pack two bf16 to dword
	;; [unrolled: 11-line block ×4, first 2 shown]
s_mul_i32 s52, s[sgprStrideD1J], 58                // scale StrideD *= numRows(29) * bpe
s_add_u32  s[sgprSrdD+0], s[sgprSrdD+0], s52       // incToNextRow: gra SRD += inc(lower)
s_addc_u32  s[sgprSrdD+1], s[sgprSrdD+1], 0        // incToNextRow: gra SRD += inc(upper)
_buffer_store_b32 v108, v10, s[sgprSrdD:sgprSrdD+3], 0, offen, offset:0,  sc0 sc1 // store D
v_cmp_u_f32 s[52:53], v[vgprValuC+110], v[vgprValuC+110] // check Nan
v_bfe_u32 v6, v[vgprValuC+110], 16, 1              // Non-Nan case: store lsb of bf16
v_add3_u32 v6, v[vgprValuC+110], v6, v9            // Non-Nan case: add lsb and the increment for rounding
v_cndmask_b32 v[vgprValuC+110], v6, v8, s[52:53]   // 
v_lshrrev_b32 v[vgprValuC+110], 16, v[vgprValuC+110] // convert C to bf16
v_cmp_u_f32 s[52:53], v[vgprValuC+111], v[vgprValuC+111] // check Nan
v_bfe_u32 v6, v[vgprValuC+111], 16, 1              // Non-Nan case: store lsb of bf16
v_add3_u32 v6, v[vgprValuC+111], v6, v9            // Non-Nan case: add lsb and the increment for rounding
v_cndmask_b32 v[vgprValuC+111], v6, v8, s[52:53]   // 
v_and_or_b32 v110, v[vgprValuC+111], v7, v[vgprValuC+110] // pack two bf16 to dword
_buffer_store_b32 v110, v10, s[sgprSrdD:sgprSrdD+3], 0, offen, offset:128,  sc0 sc1 // store D
v_cmp_u_f32 s[52:53], v[vgprValuC+112], v[vgprValuC+112] // check Nan
v_bfe_u32 v6, v[vgprValuC+112], 16, 1              // Non-Nan case: store lsb of bf16
v_add3_u32 v6, v[vgprValuC+112], v6, v9            // Non-Nan case: add lsb and the increment for rounding
v_cndmask_b32 v[vgprValuC+112], v6, v8, s[52:53]   // 
v_lshrrev_b32 v[vgprValuC+112], 16, v[vgprValuC+112] // convert C to bf16
v_cmp_u_f32 s[52:53], v[vgprValuC+113], v[vgprValuC+113] // check Nan
v_bfe_u32 v6, v[vgprValuC+113], 16, 1              // Non-Nan case: store lsb of bf16
v_add3_u32 v6, v[vgprValuC+113], v6, v9            // Non-Nan case: add lsb and the increment for rounding
v_cndmask_b32 v[vgprValuC+113], v6, v8, s[52:53]   // 
v_and_or_b32 v112, v[vgprValuC+113], v7, v[vgprValuC+112] // pack two bf16 to dword
_buffer_store_b32 v112, v10, s[sgprSrdD:sgprSrdD+3], 0, offen, offset:256,  sc0 sc1 // store D
v_cmp_u_f32 s[52:53], v[vgprValuC+114], v[vgprValuC+114] // check Nan
v_bfe_u32 v6, v[vgprValuC+114], 16, 1              // Non-Nan case: store lsb of bf16
v_add3_u32 v6, v[vgprValuC+114], v6, v9            // Non-Nan case: add lsb and the increment for rounding
v_cndmask_b32 v[vgprValuC+114], v6, v8, s[52:53]   // 
v_lshrrev_b32 v[vgprValuC+114], 16, v[vgprValuC+114] // convert C to bf16
v_cmp_u_f32 s[52:53], v[vgprValuC+115], v[vgprValuC+115] // check Nan
v_bfe_u32 v6, v[vgprValuC+115], 16, 1              // Non-Nan case: store lsb of bf16
v_add3_u32 v6, v[vgprValuC+115], v6, v9            // Non-Nan case: add lsb and the increment for rounding
v_cndmask_b32 v[vgprValuC+115], v6, v8, s[52:53]   // 
v_and_or_b32 v114, v[vgprValuC+115], v7, v[vgprValuC+114] // pack two bf16 to dword
_buffer_store_b32 v114, v10, s[sgprSrdD:sgprSrdD+3], 0, offen, offset:384,  sc0 sc1 // store D
v_cmp_u_f32 s[52:53], v[vgprValuC+116], v[vgprValuC+116] // check Nan
v_bfe_u32 v6, v[vgprValuC+116], 16, 1              // Non-Nan case: store lsb of bf16
v_add3_u32 v6, v[vgprValuC+116], v6, v9            // Non-Nan case: add lsb and the increment for rounding
v_cndmask_b32 v[vgprValuC+116], v6, v8, s[52:53]   // 
v_lshrrev_b32 v[vgprValuC+116], 16, v[vgprValuC+116] // convert C to bf16
v_cmp_u_f32 s[52:53], v[vgprValuC+117], v[vgprValuC+117] // check Nan
v_bfe_u32 v6, v[vgprValuC+117], 16, 1              // Non-Nan case: store lsb of bf16
v_add3_u32 v6, v[vgprValuC+117], v6, v9            // Non-Nan case: add lsb and the increment for rounding
v_cndmask_b32 v[vgprValuC+117], v6, v8, s[52:53]   // 
v_and_or_b32 v116, v[vgprValuC+117], v7, v[vgprValuC+116] // pack two bf16 to dword
s_lshl_b32  s52, s[sgprStrideD1J], 1               // incToNextRow: Scale by BPE
s_add_u32  s[sgprSrdD+0], s[sgprSrdD+0], s52       // incToNextRow: gra SRD += inc(lower)
s_addc_u32  s[sgprSrdD+1], s[sgprSrdD+1], 0        // incToNextRow: gra SRD += inc(upper)
_buffer_store_b32 v116, v10, s[sgprSrdD:sgprSrdD+3], 0, offen, offset:0,  sc0 sc1 // store D
v_cmp_u_f32 s[52:53], v[vgprValuC+118], v[vgprValuC+118] // check Nan
v_bfe_u32 v6, v[vgprValuC+118], 16, 1              // Non-Nan case: store lsb of bf16
v_add3_u32 v6, v[vgprValuC+118], v6, v9            // Non-Nan case: add lsb and the increment for rounding
v_cndmask_b32 v[vgprValuC+118], v6, v8, s[52:53]   // 
v_lshrrev_b32 v[vgprValuC+118], 16, v[vgprValuC+118] // convert C to bf16
v_cmp_u_f32 s[52:53], v[vgprValuC+119], v[vgprValuC+119] // check Nan
v_bfe_u32 v6, v[vgprValuC+119], 16, 1              // Non-Nan case: store lsb of bf16
v_add3_u32 v6, v[vgprValuC+119], v6, v9            // Non-Nan case: add lsb and the increment for rounding
v_cndmask_b32 v[vgprValuC+119], v6, v8, s[52:53]   // 
v_and_or_b32 v118, v[vgprValuC+119], v7, v[vgprValuC+118] // pack two bf16 to dword
_buffer_store_b32 v118, v10, s[sgprSrdD:sgprSrdD+3], 0, offen, offset:128,  sc0 sc1 // store D
v_cmp_u_f32 s[52:53], v[vgprValuC+120], v[vgprValuC+120] // check Nan
v_bfe_u32 v6, v[vgprValuC+120], 16, 1              // Non-Nan case: store lsb of bf16
v_add3_u32 v6, v[vgprValuC+120], v6, v9            // Non-Nan case: add lsb and the increment for rounding
v_cndmask_b32 v[vgprValuC+120], v6, v8, s[52:53]   // 
v_lshrrev_b32 v[vgprValuC+120], 16, v[vgprValuC+120] // convert C to bf16
v_cmp_u_f32 s[52:53], v[vgprValuC+121], v[vgprValuC+121] // check Nan
v_bfe_u32 v6, v[vgprValuC+121], 16, 1              // Non-Nan case: store lsb of bf16
v_add3_u32 v6, v[vgprValuC+121], v6, v9            // Non-Nan case: add lsb and the increment for rounding
v_cndmask_b32 v[vgprValuC+121], v6, v8, s[52:53]   // 
v_and_or_b32 v120, v[vgprValuC+121], v7, v[vgprValuC+120] // pack two bf16 to dword
_buffer_store_b32 v120, v10, s[sgprSrdD:sgprSrdD+3], 0, offen, offset:256,  sc0 sc1 // store D
v_cmp_u_f32 s[52:53], v[vgprValuC+122], v[vgprValuC+122] // check Nan
v_bfe_u32 v6, v[vgprValuC+122], 16, 1              // Non-Nan case: store lsb of bf16
v_add3_u32 v6, v[vgprValuC+122], v6, v9            // Non-Nan case: add lsb and the increment for rounding
v_cndmask_b32 v[vgprValuC+122], v6, v8, s[52:53]   // 
v_lshrrev_b32 v[vgprValuC+122], 16, v[vgprValuC+122] // convert C to bf16
v_cmp_u_f32 s[52:53], v[vgprValuC+123], v[vgprValuC+123] // check Nan
v_bfe_u32 v6, v[vgprValuC+123], 16, 1              // Non-Nan case: store lsb of bf16
v_add3_u32 v6, v[vgprValuC+123], v6, v9            // Non-Nan case: add lsb and the increment for rounding
v_cndmask_b32 v[vgprValuC+123], v6, v8, s[52:53]   // 
v_and_or_b32 v122, v[vgprValuC+123], v7, v[vgprValuC+122] // pack two bf16 to dword
_buffer_store_b32 v122, v10, s[sgprSrdD:sgprSrdD+3], 0, offen, offset:384,  sc0 sc1 // store D
v_cmp_u_f32 s[52:53], v[vgprValuC+124], v[vgprValuC+124] // check Nan
v_bfe_u32 v6, v[vgprValuC+124], 16, 1              // Non-Nan case: store lsb of bf16
v_add3_u32 v6, v[vgprValuC+124], v6, v9            // Non-Nan case: add lsb and the increment for rounding
v_cndmask_b32 v[vgprValuC+124], v6, v8, s[52:53]   // 
v_lshrrev_b32 v[vgprValuC+124], 16, v[vgprValuC+124] // convert C to bf16
v_cmp_u_f32 s[52:53], v[vgprValuC+125], v[vgprValuC+125] // check Nan
v_bfe_u32 v6, v[vgprValuC+125], 16, 1              // Non-Nan case: store lsb of bf16
v_add3_u32 v6, v[vgprValuC+125], v6, v9            // Non-Nan case: add lsb and the increment for rounding
v_cndmask_b32 v[vgprValuC+125], v6, v8, s[52:53]   // 
v_and_or_b32 v124, v[vgprValuC+125], v7, v[vgprValuC+124] // pack two bf16 to dword
s_lshl_b32  s52, s[sgprStrideD1J], 1               // incToNextRow: Scale by BPE
	;; [unrolled: 47-line block ×3, first 2 shown]
s_add_u32  s[sgprSrdD+0], s[sgprSrdD+0], s52       // incToNextRow: gra SRD += inc(lower)
s_addc_u32  s[sgprSrdD+1], s[sgprSrdD+1], 0        // incToNextRow: gra SRD += inc(upper)
_buffer_store_b32 v132, v10, s[sgprSrdD:sgprSrdD+3], 0, offen, offset:0,  sc0 sc1 // store D
v_cmp_u_f32 s[52:53], v[vgprValuC+134], v[vgprValuC+134] // check Nan
v_bfe_u32 v6, v[vgprValuC+134], 16, 1              // Non-Nan case: store lsb of bf16
v_add3_u32 v6, v[vgprValuC+134], v6, v9            // Non-Nan case: add lsb and the increment for rounding
v_cndmask_b32 v[vgprValuC+134], v6, v8, s[52:53]   // 
v_lshrrev_b32 v[vgprValuC+134], 16, v[vgprValuC+134] // convert C to bf16
v_cmp_u_f32 s[52:53], v[vgprValuC+135], v[vgprValuC+135] // check Nan
v_bfe_u32 v6, v[vgprValuC+135], 16, 1              // Non-Nan case: store lsb of bf16
v_add3_u32 v6, v[vgprValuC+135], v6, v9            // Non-Nan case: add lsb and the increment for rounding
v_cndmask_b32 v[vgprValuC+135], v6, v8, s[52:53]   // 
v_and_or_b32 v134, v[vgprValuC+135], v7, v[vgprValuC+134] // pack two bf16 to dword
_buffer_store_b32 v134, v10, s[sgprSrdD:sgprSrdD+3], 0, offen, offset:128,  sc0 sc1 // store D
v_cmp_u_f32 s[52:53], v[vgprValuC+136], v[vgprValuC+136] // check Nan
v_bfe_u32 v6, v[vgprValuC+136], 16, 1              // Non-Nan case: store lsb of bf16
v_add3_u32 v6, v[vgprValuC+136], v6, v9            // Non-Nan case: add lsb and the increment for rounding
v_cndmask_b32 v[vgprValuC+136], v6, v8, s[52:53]   // 
v_lshrrev_b32 v[vgprValuC+136], 16, v[vgprValuC+136] // convert C to bf16
v_cmp_u_f32 s[52:53], v[vgprValuC+137], v[vgprValuC+137] // check Nan
v_bfe_u32 v6, v[vgprValuC+137], 16, 1              // Non-Nan case: store lsb of bf16
v_add3_u32 v6, v[vgprValuC+137], v6, v9            // Non-Nan case: add lsb and the increment for rounding
v_cndmask_b32 v[vgprValuC+137], v6, v8, s[52:53]   // 
v_and_or_b32 v136, v[vgprValuC+137], v7, v[vgprValuC+136] // pack two bf16 to dword
_buffer_store_b32 v136, v10, s[sgprSrdD:sgprSrdD+3], 0, offen, offset:256,  sc0 sc1 // store D
v_cmp_u_f32 s[52:53], v[vgprValuC+138], v[vgprValuC+138] // check Nan
v_bfe_u32 v6, v[vgprValuC+138], 16, 1              // Non-Nan case: store lsb of bf16
v_add3_u32 v6, v[vgprValuC+138], v6, v9            // Non-Nan case: add lsb and the increment for rounding
v_cndmask_b32 v[vgprValuC+138], v6, v8, s[52:53]   // 
v_lshrrev_b32 v[vgprValuC+138], 16, v[vgprValuC+138] // convert C to bf16
v_cmp_u_f32 s[52:53], v[vgprValuC+139], v[vgprValuC+139] // check Nan
v_bfe_u32 v6, v[vgprValuC+139], 16, 1              // Non-Nan case: store lsb of bf16
v_add3_u32 v6, v[vgprValuC+139], v6, v9            // Non-Nan case: add lsb and the increment for rounding
v_cndmask_b32 v[vgprValuC+139], v6, v8, s[52:53]   // 
v_and_or_b32 v138, v[vgprValuC+139], v7, v[vgprValuC+138] // pack two bf16 to dword
_buffer_store_b32 v138, v10, s[sgprSrdD:sgprSrdD+3], 0, offen, offset:384,  sc0 sc1 // store D
v_cmp_u_f32 s[52:53], v[vgprValuC+140], v[vgprValuC+140] // check Nan
v_bfe_u32 v6, v[vgprValuC+140], 16, 1              // Non-Nan case: store lsb of bf16
v_add3_u32 v6, v[vgprValuC+140], v6, v9            // Non-Nan case: add lsb and the increment for rounding
v_cndmask_b32 v[vgprValuC+140], v6, v8, s[52:53]   // 
v_lshrrev_b32 v[vgprValuC+140], 16, v[vgprValuC+140] // convert C to bf16
v_cmp_u_f32 s[52:53], v[vgprValuC+141], v[vgprValuC+141] // check Nan
v_bfe_u32 v6, v[vgprValuC+141], 16, 1              // Non-Nan case: store lsb of bf16
v_add3_u32 v6, v[vgprValuC+141], v6, v9            // Non-Nan case: add lsb and the increment for rounding
v_cndmask_b32 v[vgprValuC+141], v6, v8, s[52:53]   // 
v_and_or_b32 v140, v[vgprValuC+141], v7, v[vgprValuC+140] // pack two bf16 to dword
s_mul_i32 s52, s[sgprStrideD1J], 58                // scale StrideD *= numRows(29) * bpe
s_add_u32  s[sgprSrdD+0], s[sgprSrdD+0], s52       // incToNextRow: gra SRD += inc(lower)
s_addc_u32  s[sgprSrdD+1], s[sgprSrdD+1], 0        // incToNextRow: gra SRD += inc(upper)
_buffer_store_b32 v140, v10, s[sgprSrdD:sgprSrdD+3], 0, offen, offset:0,  sc0 sc1 // store D
v_cmp_u_f32 s[52:53], v[vgprValuC+142], v[vgprValuC+142] // check Nan
v_bfe_u32 v6, v[vgprValuC+142], 16, 1              // Non-Nan case: store lsb of bf16
v_add3_u32 v6, v[vgprValuC+142], v6, v9            // Non-Nan case: add lsb and the increment for rounding
v_cndmask_b32 v[vgprValuC+142], v6, v8, s[52:53]   // 
v_lshrrev_b32 v[vgprValuC+142], 16, v[vgprValuC+142] // convert C to bf16
v_cmp_u_f32 s[52:53], v[vgprValuC+143], v[vgprValuC+143] // check Nan
v_bfe_u32 v6, v[vgprValuC+143], 16, 1              // Non-Nan case: store lsb of bf16
v_add3_u32 v6, v[vgprValuC+143], v6, v9            // Non-Nan case: add lsb and the increment for rounding
v_cndmask_b32 v[vgprValuC+143], v6, v8, s[52:53]   // 
v_and_or_b32 v142, v[vgprValuC+143], v7, v[vgprValuC+142] // pack two bf16 to dword
_buffer_store_b32 v142, v10, s[sgprSrdD:sgprSrdD+3], 0, offen, offset:128,  sc0 sc1 // store D
v_cmp_u_f32 s[52:53], v[vgprValuC+144], v[vgprValuC+144] // check Nan
v_bfe_u32 v6, v[vgprValuC+144], 16, 1              // Non-Nan case: store lsb of bf16
v_add3_u32 v6, v[vgprValuC+144], v6, v9            // Non-Nan case: add lsb and the increment for rounding
v_cndmask_b32 v[vgprValuC+144], v6, v8, s[52:53]   // 
v_lshrrev_b32 v[vgprValuC+144], 16, v[vgprValuC+144] // convert C to bf16
v_cmp_u_f32 s[52:53], v[vgprValuC+145], v[vgprValuC+145] // check Nan
v_bfe_u32 v6, v[vgprValuC+145], 16, 1              // Non-Nan case: store lsb of bf16
v_add3_u32 v6, v[vgprValuC+145], v6, v9            // Non-Nan case: add lsb and the increment for rounding
v_cndmask_b32 v[vgprValuC+145], v6, v8, s[52:53]   // 
v_and_or_b32 v144, v[vgprValuC+145], v7, v[vgprValuC+144] // pack two bf16 to dword
_buffer_store_b32 v144, v10, s[sgprSrdD:sgprSrdD+3], 0, offen, offset:256,  sc0 sc1 // store D
v_cmp_u_f32 s[52:53], v[vgprValuC+146], v[vgprValuC+146] // check Nan
v_bfe_u32 v6, v[vgprValuC+146], 16, 1              // Non-Nan case: store lsb of bf16
v_add3_u32 v6, v[vgprValuC+146], v6, v9            // Non-Nan case: add lsb and the increment for rounding
v_cndmask_b32 v[vgprValuC+146], v6, v8, s[52:53]   // 
v_lshrrev_b32 v[vgprValuC+146], 16, v[vgprValuC+146] // convert C to bf16
v_cmp_u_f32 s[52:53], v[vgprValuC+147], v[vgprValuC+147] // check Nan
v_bfe_u32 v6, v[vgprValuC+147], 16, 1              // Non-Nan case: store lsb of bf16
v_add3_u32 v6, v[vgprValuC+147], v6, v9            // Non-Nan case: add lsb and the increment for rounding
v_cndmask_b32 v[vgprValuC+147], v6, v8, s[52:53]   // 
v_and_or_b32 v146, v[vgprValuC+147], v7, v[vgprValuC+146] // pack two bf16 to dword
_buffer_store_b32 v146, v10, s[sgprSrdD:sgprSrdD+3], 0, offen, offset:384,  sc0 sc1 // store D
v_cmp_u_f32 s[52:53], v[vgprValuC+152], v[vgprValuC+152] // check Nan
v_bfe_u32 v6, v[vgprValuC+152], 16, 1              // Non-Nan case: store lsb of bf16
v_add3_u32 v6, v[vgprValuC+152], v6, v9            // Non-Nan case: add lsb and the increment for rounding
v_cndmask_b32 v[vgprValuC+152], v6, v8, s[52:53]   // 
v_lshrrev_b32 v[vgprValuC+152], 16, v[vgprValuC+152] // convert C to bf16
v_cmp_u_f32 s[52:53], v[vgprValuC+153], v[vgprValuC+153] // check Nan
v_bfe_u32 v6, v[vgprValuC+153], 16, 1              // Non-Nan case: store lsb of bf16
v_add3_u32 v6, v[vgprValuC+153], v6, v9            // Non-Nan case: add lsb and the increment for rounding
v_cndmask_b32 v[vgprValuC+153], v6, v8, s[52:53]   // 
v_and_or_b32 v152, v[vgprValuC+153], v7, v[vgprValuC+152] // pack two bf16 to dword
s_lshl_b32  s52, s[sgprStrideD1J], 1               // incToNextRow: Scale by BPE
s_add_u32  s[sgprSrdD+0], s[sgprSrdD+0], s52       // incToNextRow: gra SRD += inc(lower)
s_addc_u32  s[sgprSrdD+1], s[sgprSrdD+1], 0        // incToNextRow: gra SRD += inc(upper)
_buffer_store_b32 v152, v10, s[sgprSrdD:sgprSrdD+3], 0, offen, offset:0,  sc0 sc1 // store D
v_cmp_u_f32 s[52:53], v[vgprValuC+154], v[vgprValuC+154] // check Nan
v_bfe_u32 v6, v[vgprValuC+154], 16, 1              // Non-Nan case: store lsb of bf16
v_add3_u32 v6, v[vgprValuC+154], v6, v9            // Non-Nan case: add lsb and the increment for rounding
v_cndmask_b32 v[vgprValuC+154], v6, v8, s[52:53]   // 
v_lshrrev_b32 v[vgprValuC+154], 16, v[vgprValuC+154] // convert C to bf16
v_cmp_u_f32 s[52:53], v[vgprValuC+155], v[vgprValuC+155] // check Nan
v_bfe_u32 v6, v[vgprValuC+155], 16, 1              // Non-Nan case: store lsb of bf16
v_add3_u32 v6, v[vgprValuC+155], v6, v9            // Non-Nan case: add lsb and the increment for rounding
v_cndmask_b32 v[vgprValuC+155], v6, v8, s[52:53]   // 
v_and_or_b32 v154, v[vgprValuC+155], v7, v[vgprValuC+154] // pack two bf16 to dword
_buffer_store_b32 v154, v10, s[sgprSrdD:sgprSrdD+3], 0, offen, offset:128,  sc0 sc1 // store D
v_cmp_u_f32 s[52:53], v[vgprValuC+156], v[vgprValuC+156] // check Nan
v_bfe_u32 v6, v[vgprValuC+156], 16, 1              // Non-Nan case: store lsb of bf16
v_add3_u32 v6, v[vgprValuC+156], v6, v9            // Non-Nan case: add lsb and the increment for rounding
v_cndmask_b32 v[vgprValuC+156], v6, v8, s[52:53]   // 
v_lshrrev_b32 v[vgprValuC+156], 16, v[vgprValuC+156] // convert C to bf16
v_cmp_u_f32 s[52:53], v[vgprValuC+157], v[vgprValuC+157] // check Nan
v_bfe_u32 v6, v[vgprValuC+157], 16, 1              // Non-Nan case: store lsb of bf16
v_add3_u32 v6, v[vgprValuC+157], v6, v9            // Non-Nan case: add lsb and the increment for rounding
v_cndmask_b32 v[vgprValuC+157], v6, v8, s[52:53]   // 
v_and_or_b32 v156, v[vgprValuC+157], v7, v[vgprValuC+156] // pack two bf16 to dword
_buffer_store_b32 v156, v10, s[sgprSrdD:sgprSrdD+3], 0, offen, offset:256,  sc0 sc1 // store D
v_cmp_u_f32 s[52:53], v[vgprValuC+158], v[vgprValuC+158] // check Nan
v_bfe_u32 v6, v[vgprValuC+158], 16, 1              // Non-Nan case: store lsb of bf16
v_add3_u32 v6, v[vgprValuC+158], v6, v9            // Non-Nan case: add lsb and the increment for rounding
v_cndmask_b32 v[vgprValuC+158], v6, v8, s[52:53]   // 
v_lshrrev_b32 v[vgprValuC+158], 16, v[vgprValuC+158] // convert C to bf16
v_cmp_u_f32 s[52:53], v[vgprValuC+159], v[vgprValuC+159] // check Nan
v_bfe_u32 v6, v[vgprValuC+159], 16, 1              // Non-Nan case: store lsb of bf16
v_add3_u32 v6, v[vgprValuC+159], v6, v9            // Non-Nan case: add lsb and the increment for rounding
v_cndmask_b32 v[vgprValuC+159], v6, v8, s[52:53]   // 
v_and_or_b32 v158, v[vgprValuC+159], v7, v[vgprValuC+158] // pack two bf16 to dword
_buffer_store_b32 v158, v10, s[sgprSrdD:sgprSrdD+3], 0, offen, offset:384,  sc0 sc1 // store D
v_cmp_u_f32 s[52:53], v[vgprValuC+160], v[vgprValuC+160] // check Nan
v_bfe_u32 v6, v[vgprValuC+160], 16, 1              // Non-Nan case: store lsb of bf16
v_add3_u32 v6, v[vgprValuC+160], v6, v9            // Non-Nan case: add lsb and the increment for rounding
v_cndmask_b32 v[vgprValuC+160], v6, v8, s[52:53]   // 
v_lshrrev_b32 v[vgprValuC+160], 16, v[vgprValuC+160] // convert C to bf16
v_cmp_u_f32 s[52:53], v[vgprValuC+161], v[vgprValuC+161] // check Nan
v_bfe_u32 v6, v[vgprValuC+161], 16, 1              // Non-Nan case: store lsb of bf16
v_add3_u32 v6, v[vgprValuC+161], v6, v9            // Non-Nan case: add lsb and the increment for rounding
v_cndmask_b32 v[vgprValuC+161], v6, v8, s[52:53]   // 
v_and_or_b32 v160, v[vgprValuC+161], v7, v[vgprValuC+160] // pack two bf16 to dword
s_lshl_b32  s52, s[sgprStrideD1J], 1               // incToNextRow: Scale by BPE
	;; [unrolled: 47-line block ×3, first 2 shown]
s_add_u32  s[sgprSrdD+0], s[sgprSrdD+0], s52       // incToNextRow: gra SRD += inc(lower)
s_addc_u32  s[sgprSrdD+1], s[sgprSrdD+1], 0        // incToNextRow: gra SRD += inc(upper)
_buffer_store_b32 v168, v10, s[sgprSrdD:sgprSrdD+3], 0, offen, offset:0,  sc0 sc1 // store D
v_cmp_u_f32 s[52:53], v[vgprValuC+170], v[vgprValuC+170] // check Nan
v_bfe_u32 v6, v[vgprValuC+170], 16, 1              // Non-Nan case: store lsb of bf16
v_add3_u32 v6, v[vgprValuC+170], v6, v9            // Non-Nan case: add lsb and the increment for rounding
v_cndmask_b32 v[vgprValuC+170], v6, v8, s[52:53]   // 
v_lshrrev_b32 v[vgprValuC+170], 16, v[vgprValuC+170] // convert C to bf16
v_cmp_u_f32 s[52:53], v[vgprValuC+171], v[vgprValuC+171] // check Nan
v_bfe_u32 v6, v[vgprValuC+171], 16, 1              // Non-Nan case: store lsb of bf16
v_add3_u32 v6, v[vgprValuC+171], v6, v9            // Non-Nan case: add lsb and the increment for rounding
v_cndmask_b32 v[vgprValuC+171], v6, v8, s[52:53]   // 
v_and_or_b32 v170, v[vgprValuC+171], v7, v[vgprValuC+170] // pack two bf16 to dword
_buffer_store_b32 v170, v10, s[sgprSrdD:sgprSrdD+3], 0, offen, offset:128,  sc0 sc1 // store D
v_cmp_u_f32 s[52:53], v[vgprValuC+172], v[vgprValuC+172] // check Nan
v_bfe_u32 v6, v[vgprValuC+172], 16, 1              // Non-Nan case: store lsb of bf16
v_add3_u32 v6, v[vgprValuC+172], v6, v9            // Non-Nan case: add lsb and the increment for rounding
v_cndmask_b32 v[vgprValuC+172], v6, v8, s[52:53]   // 
v_lshrrev_b32 v[vgprValuC+172], 16, v[vgprValuC+172] // convert C to bf16
v_cmp_u_f32 s[52:53], v[vgprValuC+173], v[vgprValuC+173] // check Nan
v_bfe_u32 v6, v[vgprValuC+173], 16, 1              // Non-Nan case: store lsb of bf16
v_add3_u32 v6, v[vgprValuC+173], v6, v9            // Non-Nan case: add lsb and the increment for rounding
v_cndmask_b32 v[vgprValuC+173], v6, v8, s[52:53]   // 
v_and_or_b32 v172, v[vgprValuC+173], v7, v[vgprValuC+172] // pack two bf16 to dword
	;; [unrolled: 11-line block ×4, first 2 shown]
s_mul_i32 s52, s[sgprStrideD1J], 58                // scale StrideD *= numRows(29) * bpe
s_add_u32  s[sgprSrdD+0], s[sgprSrdD+0], s52       // incToNextRow: gra SRD += inc(lower)
s_addc_u32  s[sgprSrdD+1], s[sgprSrdD+1], 0        // incToNextRow: gra SRD += inc(upper)
_buffer_store_b32 v176, v10, s[sgprSrdD:sgprSrdD+3], 0, offen, offset:0,  sc0 sc1 // store D
v_cmp_u_f32 s[52:53], v[vgprValuC+178], v[vgprValuC+178] // check Nan
v_bfe_u32 v6, v[vgprValuC+178], 16, 1              // Non-Nan case: store lsb of bf16
v_add3_u32 v6, v[vgprValuC+178], v6, v9            // Non-Nan case: add lsb and the increment for rounding
v_cndmask_b32 v[vgprValuC+178], v6, v8, s[52:53]   // 
v_lshrrev_b32 v[vgprValuC+178], 16, v[vgprValuC+178] // convert C to bf16
v_cmp_u_f32 s[52:53], v[vgprValuC+179], v[vgprValuC+179] // check Nan
v_bfe_u32 v6, v[vgprValuC+179], 16, 1              // Non-Nan case: store lsb of bf16
v_add3_u32 v6, v[vgprValuC+179], v6, v9            // Non-Nan case: add lsb and the increment for rounding
v_cndmask_b32 v[vgprValuC+179], v6, v8, s[52:53]   // 
v_and_or_b32 v178, v[vgprValuC+179], v7, v[vgprValuC+178] // pack two bf16 to dword
_buffer_store_b32 v178, v10, s[sgprSrdD:sgprSrdD+3], 0, offen, offset:128,  sc0 sc1 // store D
v_cmp_u_f32 s[52:53], v[vgprValuC+180], v[vgprValuC+180] // check Nan
v_bfe_u32 v6, v[vgprValuC+180], 16, 1              // Non-Nan case: store lsb of bf16
v_add3_u32 v6, v[vgprValuC+180], v6, v9            // Non-Nan case: add lsb and the increment for rounding
v_cndmask_b32 v[vgprValuC+180], v6, v8, s[52:53]   // 
v_lshrrev_b32 v[vgprValuC+180], 16, v[vgprValuC+180] // convert C to bf16
v_cmp_u_f32 s[52:53], v[vgprValuC+181], v[vgprValuC+181] // check Nan
v_bfe_u32 v6, v[vgprValuC+181], 16, 1              // Non-Nan case: store lsb of bf16
v_add3_u32 v6, v[vgprValuC+181], v6, v9            // Non-Nan case: add lsb and the increment for rounding
v_cndmask_b32 v[vgprValuC+181], v6, v8, s[52:53]   // 
v_and_or_b32 v180, v[vgprValuC+181], v7, v[vgprValuC+180] // pack two bf16 to dword
_buffer_store_b32 v180, v10, s[sgprSrdD:sgprSrdD+3], 0, offen, offset:256,  sc0 sc1 // store D
v_cmp_u_f32 s[52:53], v[vgprValuC+182], v[vgprValuC+182] // check Nan
v_bfe_u32 v6, v[vgprValuC+182], 16, 1              // Non-Nan case: store lsb of bf16
v_add3_u32 v6, v[vgprValuC+182], v6, v9            // Non-Nan case: add lsb and the increment for rounding
v_cndmask_b32 v[vgprValuC+182], v6, v8, s[52:53]   // 
v_lshrrev_b32 v[vgprValuC+182], 16, v[vgprValuC+182] // convert C to bf16
v_cmp_u_f32 s[52:53], v[vgprValuC+183], v[vgprValuC+183] // check Nan
v_bfe_u32 v6, v[vgprValuC+183], 16, 1              // Non-Nan case: store lsb of bf16
v_add3_u32 v6, v[vgprValuC+183], v6, v9            // Non-Nan case: add lsb and the increment for rounding
v_cndmask_b32 v[vgprValuC+183], v6, v8, s[52:53]   // 
v_and_or_b32 v182, v[vgprValuC+183], v7, v[vgprValuC+182] // pack two bf16 to dword
_buffer_store_b32 v182, v10, s[sgprSrdD:sgprSrdD+3], 0, offen, offset:384,  sc0 sc1 // store D
v_cmp_u_f32 s[52:53], v[vgprValuC+184], v[vgprValuC+184] // check Nan
v_bfe_u32 v6, v[vgprValuC+184], 16, 1              // Non-Nan case: store lsb of bf16
v_add3_u32 v6, v[vgprValuC+184], v6, v9            // Non-Nan case: add lsb and the increment for rounding
v_cndmask_b32 v[vgprValuC+184], v6, v8, s[52:53]   // 
v_lshrrev_b32 v[vgprValuC+184], 16, v[vgprValuC+184] // convert C to bf16
v_cmp_u_f32 s[52:53], v[vgprValuC+185], v[vgprValuC+185] // check Nan
v_bfe_u32 v6, v[vgprValuC+185], 16, 1              // Non-Nan case: store lsb of bf16
v_add3_u32 v6, v[vgprValuC+185], v6, v9            // Non-Nan case: add lsb and the increment for rounding
v_cndmask_b32 v[vgprValuC+185], v6, v8, s[52:53]   // 
v_and_or_b32 v184, v[vgprValuC+185], v7, v[vgprValuC+184] // pack two bf16 to dword
s_lshl_b32  s52, s[sgprStrideD1J], 1               // incToNextRow: Scale by BPE
s_add_u32  s[sgprSrdD+0], s[sgprSrdD+0], s52       // incToNextRow: gra SRD += inc(lower)
s_addc_u32  s[sgprSrdD+1], s[sgprSrdD+1], 0        // incToNextRow: gra SRD += inc(upper)
_buffer_store_b32 v184, v10, s[sgprSrdD:sgprSrdD+3], 0, offen, offset:0,  sc0 sc1 // store D
v_cmp_u_f32 s[52:53], v[vgprValuC+186], v[vgprValuC+186] // check Nan
v_bfe_u32 v6, v[vgprValuC+186], 16, 1              // Non-Nan case: store lsb of bf16
v_add3_u32 v6, v[vgprValuC+186], v6, v9            // Non-Nan case: add lsb and the increment for rounding
v_cndmask_b32 v[vgprValuC+186], v6, v8, s[52:53]   // 
v_lshrrev_b32 v[vgprValuC+186], 16, v[vgprValuC+186] // convert C to bf16
v_cmp_u_f32 s[52:53], v[vgprValuC+187], v[vgprValuC+187] // check Nan
v_bfe_u32 v6, v[vgprValuC+187], 16, 1              // Non-Nan case: store lsb of bf16
v_add3_u32 v6, v[vgprValuC+187], v6, v9            // Non-Nan case: add lsb and the increment for rounding
v_cndmask_b32 v[vgprValuC+187], v6, v8, s[52:53]   // 
v_and_or_b32 v186, v[vgprValuC+187], v7, v[vgprValuC+186] // pack two bf16 to dword
_buffer_store_b32 v186, v10, s[sgprSrdD:sgprSrdD+3], 0, offen, offset:128,  sc0 sc1 // store D
v_cmp_u_f32 s[52:53], v[vgprValuC+188], v[vgprValuC+188] // check Nan
v_bfe_u32 v6, v[vgprValuC+188], 16, 1              // Non-Nan case: store lsb of bf16
v_add3_u32 v6, v[vgprValuC+188], v6, v9            // Non-Nan case: add lsb and the increment for rounding
v_cndmask_b32 v[vgprValuC+188], v6, v8, s[52:53]   // 
v_lshrrev_b32 v[vgprValuC+188], 16, v[vgprValuC+188] // convert C to bf16
v_cmp_u_f32 s[52:53], v[vgprValuC+189], v[vgprValuC+189] // check Nan
v_bfe_u32 v6, v[vgprValuC+189], 16, 1              // Non-Nan case: store lsb of bf16
v_add3_u32 v6, v[vgprValuC+189], v6, v9            // Non-Nan case: add lsb and the increment for rounding
v_cndmask_b32 v[vgprValuC+189], v6, v8, s[52:53]   // 
v_and_or_b32 v188, v[vgprValuC+189], v7, v[vgprValuC+188] // pack two bf16 to dword
_buffer_store_b32 v188, v10, s[sgprSrdD:sgprSrdD+3], 0, offen, offset:256,  sc0 sc1 // store D
v_cmp_u_f32 s[52:53], v[vgprValuC+190], v[vgprValuC+190] // check Nan
v_bfe_u32 v6, v[vgprValuC+190], 16, 1              // Non-Nan case: store lsb of bf16
v_add3_u32 v6, v[vgprValuC+190], v6, v9            // Non-Nan case: add lsb and the increment for rounding
v_cndmask_b32 v[vgprValuC+190], v6, v8, s[52:53]   // 
v_lshrrev_b32 v[vgprValuC+190], 16, v[vgprValuC+190] // convert C to bf16
v_cmp_u_f32 s[52:53], v[vgprValuC+191], v[vgprValuC+191] // check Nan
v_bfe_u32 v6, v[vgprValuC+191], 16, 1              // Non-Nan case: store lsb of bf16
v_add3_u32 v6, v[vgprValuC+191], v6, v9            // Non-Nan case: add lsb and the increment for rounding
v_cndmask_b32 v[vgprValuC+191], v6, v8, s[52:53]   // 
v_and_or_b32 v190, v[vgprValuC+191], v7, v[vgprValuC+190] // pack two bf16 to dword
_buffer_store_b32 v190, v10, s[sgprSrdD:sgprSrdD+3], 0, offen, offset:384,  sc0 sc1 // store D
v_cmp_u_f32 s[52:53], v[vgprValuC+192], v[vgprValuC+192] // check Nan
v_bfe_u32 v6, v[vgprValuC+192], 16, 1              // Non-Nan case: store lsb of bf16
v_add3_u32 v6, v[vgprValuC+192], v6, v9            // Non-Nan case: add lsb and the increment for rounding
v_cndmask_b32 v[vgprValuC+192], v6, v8, s[52:53]   // 
v_lshrrev_b32 v[vgprValuC+192], 16, v[vgprValuC+192] // convert C to bf16
v_cmp_u_f32 s[52:53], v[vgprValuC+193], v[vgprValuC+193] // check Nan
v_bfe_u32 v6, v[vgprValuC+193], 16, 1              // Non-Nan case: store lsb of bf16
v_add3_u32 v6, v[vgprValuC+193], v6, v9            // Non-Nan case: add lsb and the increment for rounding
v_cndmask_b32 v[vgprValuC+193], v6, v8, s[52:53]   // 
v_and_or_b32 v192, v[vgprValuC+193], v7, v[vgprValuC+192] // pack two bf16 to dword
s_lshl_b32  s52, s[sgprStrideD1J], 1               // incToNextRow: Scale by BPE
	;; [unrolled: 47-line block ×3, first 2 shown]
s_add_u32  s[sgprSrdD+0], s[sgprSrdD+0], s52       // incToNextRow: gra SRD += inc(lower)
s_addc_u32  s[sgprSrdD+1], s[sgprSrdD+1], 0        // incToNextRow: gra SRD += inc(upper)
_buffer_store_b32 v200, v10, s[sgprSrdD:sgprSrdD+3], 0, offen, offset:0,  sc0 sc1 // store D
v_cmp_u_f32 s[52:53], v[vgprValuC+202], v[vgprValuC+202] // check Nan
v_bfe_u32 v6, v[vgprValuC+202], 16, 1              // Non-Nan case: store lsb of bf16
v_add3_u32 v6, v[vgprValuC+202], v6, v9            // Non-Nan case: add lsb and the increment for rounding
v_cndmask_b32 v[vgprValuC+202], v6, v8, s[52:53]   // 
v_lshrrev_b32 v[vgprValuC+202], 16, v[vgprValuC+202] // convert C to bf16
v_cmp_u_f32 s[52:53], v[vgprValuC+203], v[vgprValuC+203] // check Nan
v_bfe_u32 v6, v[vgprValuC+203], 16, 1              // Non-Nan case: store lsb of bf16
v_add3_u32 v6, v[vgprValuC+203], v6, v9            // Non-Nan case: add lsb and the increment for rounding
v_cndmask_b32 v[vgprValuC+203], v6, v8, s[52:53]   // 
v_and_or_b32 v202, v[vgprValuC+203], v7, v[vgprValuC+202] // pack two bf16 to dword
_buffer_store_b32 v202, v10, s[sgprSrdD:sgprSrdD+3], 0, offen, offset:128,  sc0 sc1 // store D
v_cmp_u_f32 s[52:53], v[vgprValuC+204], v[vgprValuC+204] // check Nan
v_bfe_u32 v6, v[vgprValuC+204], 16, 1              // Non-Nan case: store lsb of bf16
v_add3_u32 v6, v[vgprValuC+204], v6, v9            // Non-Nan case: add lsb and the increment for rounding
v_cndmask_b32 v[vgprValuC+204], v6, v8, s[52:53]   // 
v_lshrrev_b32 v[vgprValuC+204], 16, v[vgprValuC+204] // convert C to bf16
v_cmp_u_f32 s[52:53], v[vgprValuC+205], v[vgprValuC+205] // check Nan
v_bfe_u32 v6, v[vgprValuC+205], 16, 1              // Non-Nan case: store lsb of bf16
v_add3_u32 v6, v[vgprValuC+205], v6, v9            // Non-Nan case: add lsb and the increment for rounding
v_cndmask_b32 v[vgprValuC+205], v6, v8, s[52:53]   // 
v_and_or_b32 v204, v[vgprValuC+205], v7, v[vgprValuC+204] // pack two bf16 to dword
	;; [unrolled: 11-line block ×4, first 2 shown]
s_mul_i32 s52, s[sgprStrideD1J], 58                // scale StrideD *= numRows(29) * bpe
s_add_u32  s[sgprSrdD+0], s[sgprSrdD+0], s52       // incToNextRow: gra SRD += inc(lower)
s_addc_u32  s[sgprSrdD+1], s[sgprSrdD+1], 0        // incToNextRow: gra SRD += inc(upper)
_buffer_store_b32 v208, v10, s[sgprSrdD:sgprSrdD+3], 0, offen, offset:0,  sc0 sc1 // store D
v_cmp_u_f32 s[52:53], v[vgprValuC+210], v[vgprValuC+210] // check Nan
v_bfe_u32 v6, v[vgprValuC+210], 16, 1              // Non-Nan case: store lsb of bf16
v_add3_u32 v6, v[vgprValuC+210], v6, v9            // Non-Nan case: add lsb and the increment for rounding
v_cndmask_b32 v[vgprValuC+210], v6, v8, s[52:53]   // 
v_lshrrev_b32 v[vgprValuC+210], 16, v[vgprValuC+210] // convert C to bf16
v_cmp_u_f32 s[52:53], v[vgprValuC+211], v[vgprValuC+211] // check Nan
v_bfe_u32 v6, v[vgprValuC+211], 16, 1              // Non-Nan case: store lsb of bf16
v_add3_u32 v6, v[vgprValuC+211], v6, v9            // Non-Nan case: add lsb and the increment for rounding
v_cndmask_b32 v[vgprValuC+211], v6, v8, s[52:53]   // 
v_and_or_b32 v210, v[vgprValuC+211], v7, v[vgprValuC+210] // pack two bf16 to dword
_buffer_store_b32 v210, v10, s[sgprSrdD:sgprSrdD+3], 0, offen, offset:128,  sc0 sc1 // store D
v_cmp_u_f32 s[52:53], v[vgprValuC+212], v[vgprValuC+212] // check Nan
v_bfe_u32 v6, v[vgprValuC+212], 16, 1              // Non-Nan case: store lsb of bf16
v_add3_u32 v6, v[vgprValuC+212], v6, v9            // Non-Nan case: add lsb and the increment for rounding
v_cndmask_b32 v[vgprValuC+212], v6, v8, s[52:53]   // 
v_lshrrev_b32 v[vgprValuC+212], 16, v[vgprValuC+212] // convert C to bf16
v_cmp_u_f32 s[52:53], v[vgprValuC+213], v[vgprValuC+213] // check Nan
v_bfe_u32 v6, v[vgprValuC+213], 16, 1              // Non-Nan case: store lsb of bf16
v_add3_u32 v6, v[vgprValuC+213], v6, v9            // Non-Nan case: add lsb and the increment for rounding
v_cndmask_b32 v[vgprValuC+213], v6, v8, s[52:53]   // 
v_and_or_b32 v212, v[vgprValuC+213], v7, v[vgprValuC+212] // pack two bf16 to dword
_buffer_store_b32 v212, v10, s[sgprSrdD:sgprSrdD+3], 0, offen, offset:256,  sc0 sc1 // store D
v_cmp_u_f32 s[52:53], v[vgprValuC+214], v[vgprValuC+214] // check Nan
v_bfe_u32 v6, v[vgprValuC+214], 16, 1              // Non-Nan case: store lsb of bf16
v_add3_u32 v6, v[vgprValuC+214], v6, v9            // Non-Nan case: add lsb and the increment for rounding
v_cndmask_b32 v[vgprValuC+214], v6, v8, s[52:53]   // 
v_lshrrev_b32 v[vgprValuC+214], 16, v[vgprValuC+214] // convert C to bf16
v_cmp_u_f32 s[52:53], v[vgprValuC+215], v[vgprValuC+215] // check Nan
v_bfe_u32 v6, v[vgprValuC+215], 16, 1              // Non-Nan case: store lsb of bf16
v_add3_u32 v6, v[vgprValuC+215], v6, v9            // Non-Nan case: add lsb and the increment for rounding
v_cndmask_b32 v[vgprValuC+215], v6, v8, s[52:53]   // 
v_and_or_b32 v214, v[vgprValuC+215], v7, v[vgprValuC+214] // pack two bf16 to dword
_buffer_store_b32 v214, v10, s[sgprSrdD:sgprSrdD+3], 0, offen, offset:384,  sc0 sc1 // store D
v_cmp_u_f32 s[52:53], v[vgprValuC+216], v[vgprValuC+216] // check Nan
v_bfe_u32 v6, v[vgprValuC+216], 16, 1              // Non-Nan case: store lsb of bf16
v_add3_u32 v6, v[vgprValuC+216], v6, v9            // Non-Nan case: add lsb and the increment for rounding
v_cndmask_b32 v[vgprValuC+216], v6, v8, s[52:53]   // 
v_lshrrev_b32 v[vgprValuC+216], 16, v[vgprValuC+216] // convert C to bf16
v_cmp_u_f32 s[52:53], v[vgprValuC+217], v[vgprValuC+217] // check Nan
v_bfe_u32 v6, v[vgprValuC+217], 16, 1              // Non-Nan case: store lsb of bf16
v_add3_u32 v6, v[vgprValuC+217], v6, v9            // Non-Nan case: add lsb and the increment for rounding
v_cndmask_b32 v[vgprValuC+217], v6, v8, s[52:53]   // 
v_and_or_b32 v216, v[vgprValuC+217], v7, v[vgprValuC+216] // pack two bf16 to dword
s_lshl_b32  s52, s[sgprStrideD1J], 1               // incToNextRow: Scale by BPE
s_add_u32  s[sgprSrdD+0], s[sgprSrdD+0], s52       // incToNextRow: gra SRD += inc(lower)
s_addc_u32  s[sgprSrdD+1], s[sgprSrdD+1], 0        // incToNextRow: gra SRD += inc(upper)
_buffer_store_b32 v216, v10, s[sgprSrdD:sgprSrdD+3], 0, offen, offset:0,  sc0 sc1 // store D
v_cmp_u_f32 s[52:53], v[vgprValuC+218], v[vgprValuC+218] // check Nan
v_bfe_u32 v6, v[vgprValuC+218], 16, 1              // Non-Nan case: store lsb of bf16
v_add3_u32 v6, v[vgprValuC+218], v6, v9            // Non-Nan case: add lsb and the increment for rounding
v_cndmask_b32 v[vgprValuC+218], v6, v8, s[52:53]   // 
v_lshrrev_b32 v[vgprValuC+218], 16, v[vgprValuC+218] // convert C to bf16
v_cmp_u_f32 s[52:53], v[vgprValuC+219], v[vgprValuC+219] // check Nan
v_bfe_u32 v6, v[vgprValuC+219], 16, 1              // Non-Nan case: store lsb of bf16
v_add3_u32 v6, v[vgprValuC+219], v6, v9            // Non-Nan case: add lsb and the increment for rounding
v_cndmask_b32 v[vgprValuC+219], v6, v8, s[52:53]   // 
v_and_or_b32 v218, v[vgprValuC+219], v7, v[vgprValuC+218] // pack two bf16 to dword
_buffer_store_b32 v218, v10, s[sgprSrdD:sgprSrdD+3], 0, offen, offset:128,  sc0 sc1 // store D
v_cmp_u_f32 s[52:53], v[vgprValuC+220], v[vgprValuC+220] // check Nan
v_bfe_u32 v6, v[vgprValuC+220], 16, 1              // Non-Nan case: store lsb of bf16
v_add3_u32 v6, v[vgprValuC+220], v6, v9            // Non-Nan case: add lsb and the increment for rounding
v_cndmask_b32 v[vgprValuC+220], v6, v8, s[52:53]   // 
v_lshrrev_b32 v[vgprValuC+220], 16, v[vgprValuC+220] // convert C to bf16
v_cmp_u_f32 s[52:53], v[vgprValuC+221], v[vgprValuC+221] // check Nan
v_bfe_u32 v6, v[vgprValuC+221], 16, 1              // Non-Nan case: store lsb of bf16
v_add3_u32 v6, v[vgprValuC+221], v6, v9            // Non-Nan case: add lsb and the increment for rounding
v_cndmask_b32 v[vgprValuC+221], v6, v8, s[52:53]   // 
v_and_or_b32 v220, v[vgprValuC+221], v7, v[vgprValuC+220] // pack two bf16 to dword
_buffer_store_b32 v220, v10, s[sgprSrdD:sgprSrdD+3], 0, offen, offset:256,  sc0 sc1 // store D
v_cmp_u_f32 s[52:53], v[vgprValuC+222], v[vgprValuC+222] // check Nan
v_bfe_u32 v6, v[vgprValuC+222], 16, 1              // Non-Nan case: store lsb of bf16
v_add3_u32 v6, v[vgprValuC+222], v6, v9            // Non-Nan case: add lsb and the increment for rounding
v_cndmask_b32 v[vgprValuC+222], v6, v8, s[52:53]   // 
v_lshrrev_b32 v[vgprValuC+222], 16, v[vgprValuC+222] // convert C to bf16
v_cmp_u_f32 s[52:53], v[vgprValuC+223], v[vgprValuC+223] // check Nan
v_bfe_u32 v6, v[vgprValuC+223], 16, 1              // Non-Nan case: store lsb of bf16
v_add3_u32 v6, v[vgprValuC+223], v6, v9            // Non-Nan case: add lsb and the increment for rounding
v_cndmask_b32 v[vgprValuC+223], v6, v8, s[52:53]   // 
v_and_or_b32 v222, v[vgprValuC+223], v7, v[vgprValuC+222] // pack two bf16 to dword
_buffer_store_b32 v222, v10, s[sgprSrdD:sgprSrdD+3], 0, offen, offset:384,  sc0 sc1 // store D
v_cmp_u_f32 s[52:53], v[vgprValuC+224], v[vgprValuC+224] // check Nan
v_bfe_u32 v6, v[vgprValuC+224], 16, 1              // Non-Nan case: store lsb of bf16
v_add3_u32 v6, v[vgprValuC+224], v6, v9            // Non-Nan case: add lsb and the increment for rounding
v_cndmask_b32 v[vgprValuC+224], v6, v8, s[52:53]   // 
v_lshrrev_b32 v[vgprValuC+224], 16, v[vgprValuC+224] // convert C to bf16
v_cmp_u_f32 s[52:53], v[vgprValuC+225], v[vgprValuC+225] // check Nan
v_bfe_u32 v6, v[vgprValuC+225], 16, 1              // Non-Nan case: store lsb of bf16
v_add3_u32 v6, v[vgprValuC+225], v6, v9            // Non-Nan case: add lsb and the increment for rounding
v_cndmask_b32 v[vgprValuC+225], v6, v8, s[52:53]   // 
v_and_or_b32 v224, v[vgprValuC+225], v7, v[vgprValuC+224] // pack two bf16 to dword
s_lshl_b32  s52, s[sgprStrideD1J], 1               // incToNextRow: Scale by BPE
s_add_u32  s[sgprSrdD+0], s[sgprSrdD+0], s52       // incToNextRow: gra SRD += inc(lower)
s_addc_u32  s[sgprSrdD+1], s[sgprSrdD+1], 0        // incToNextRow: gra SRD += inc(upper)
_buffer_store_b32 v224, v10, s[sgprSrdD:sgprSrdD+3], 0, offen, offset:0,  sc0 sc1 // store D
v_cmp_u_f32 s[52:53], v[vgprValuC+226], v[vgprValuC+226] // check Nan
v_bfe_u32 v6, v[vgprValuC+226], 16, 1              // Non-Nan case: store lsb of bf16
v_add3_u32 v6, v[vgprValuC+226], v6, v9            // Non-Nan case: add lsb and the increment for rounding
v_cndmask_b32 v[vgprValuC+226], v6, v8, s[52:53]   // 
v_lshrrev_b32 v[vgprValuC+226], 16, v[vgprValuC+226] // convert C to bf16
v_cmp_u_f32 s[52:53], v[vgprValuC+227], v[vgprValuC+227] // check Nan
v_bfe_u32 v6, v[vgprValuC+227], 16, 1              // Non-Nan case: store lsb of bf16
v_add3_u32 v6, v[vgprValuC+227], v6, v9            // Non-Nan case: add lsb and the increment for rounding
v_cndmask_b32 v[vgprValuC+227], v6, v8, s[52:53]   // 
v_and_or_b32 v226, v[vgprValuC+227], v7, v[vgprValuC+226] // pack two bf16 to dword
_buffer_store_b32 v226, v10, s[sgprSrdD:sgprSrdD+3], 0, offen, offset:128,  sc0 sc1 // store D
v_cmp_u_f32 s[52:53], v[vgprValuC+228], v[vgprValuC+228] // check Nan
v_bfe_u32 v6, v[vgprValuC+228], 16, 1              // Non-Nan case: store lsb of bf16
v_add3_u32 v6, v[vgprValuC+228], v6, v9            // Non-Nan case: add lsb and the increment for rounding
v_cndmask_b32 v[vgprValuC+228], v6, v8, s[52:53]   // 
v_lshrrev_b32 v[vgprValuC+228], 16, v[vgprValuC+228] // convert C to bf16
v_cmp_u_f32 s[52:53], v[vgprValuC+229], v[vgprValuC+229] // check Nan
v_bfe_u32 v6, v[vgprValuC+229], 16, 1              // Non-Nan case: store lsb of bf16
v_add3_u32 v6, v[vgprValuC+229], v6, v9            // Non-Nan case: add lsb and the increment for rounding
v_cndmask_b32 v[vgprValuC+229], v6, v8, s[52:53]   // 
v_and_or_b32 v228, v[vgprValuC+229], v7, v[vgprValuC+228] // pack two bf16 to dword
_buffer_store_b32 v228, v10, s[sgprSrdD:sgprSrdD+3], 0, offen, offset:256,  sc0 sc1 // store D
v_cmp_u_f32 s[52:53], v[vgprValuC+230], v[vgprValuC+230] // check Nan
v_bfe_u32 v6, v[vgprValuC+230], 16, 1              // Non-Nan case: store lsb of bf16
v_add3_u32 v6, v[vgprValuC+230], v6, v9            // Non-Nan case: add lsb and the increment for rounding
v_cndmask_b32 v[vgprValuC+230], v6, v8, s[52:53]   // 
v_lshrrev_b32 v[vgprValuC+230], 16, v[vgprValuC+230] // convert C to bf16
v_cmp_u_f32 s[52:53], v[vgprValuC+231], v[vgprValuC+231] // check Nan
v_bfe_u32 v6, v[vgprValuC+231], 16, 1              // Non-Nan case: store lsb of bf16
v_add3_u32 v6, v[vgprValuC+231], v6, v9            // Non-Nan case: add lsb and the increment for rounding
v_cndmask_b32 v[vgprValuC+231], v6, v8, s[52:53]   // 
v_and_or_b32 v230, v[vgprValuC+231], v7, v[vgprValuC+230] // pack two bf16 to dword
_buffer_store_b32 v230, v10, s[sgprSrdD:sgprSrdD+3], 0, offen, offset:384,  sc0 sc1 // store D
v_cmp_u_f32 s[52:53], v[vgprValuC+232], v[vgprValuC+232] // check Nan
v_bfe_u32 v6, v[vgprValuC+232], 16, 1              // Non-Nan case: store lsb of bf16
v_add3_u32 v6, v[vgprValuC+232], v6, v9            // Non-Nan case: add lsb and the increment for rounding
v_cndmask_b32 v[vgprValuC+232], v6, v8, s[52:53]   // 
v_lshrrev_b32 v[vgprValuC+232], 16, v[vgprValuC+232] // convert C to bf16
v_cmp_u_f32 s[52:53], v[vgprValuC+233], v[vgprValuC+233] // check Nan
v_bfe_u32 v6, v[vgprValuC+233], 16, 1              // Non-Nan case: store lsb of bf16
v_add3_u32 v6, v[vgprValuC+233], v6, v9            // Non-Nan case: add lsb and the increment for rounding
v_cndmask_b32 v[vgprValuC+233], v6, v8, s[52:53]   // 
v_and_or_b32 v232, v[vgprValuC+233], v7, v[vgprValuC+232] // pack two bf16 to dword
s_lshl_b32  s52, s[sgprStrideD1J], 1               // incToNextRow: Scale by BPE
s_add_u32  s[sgprSrdD+0], s[sgprSrdD+0], s52       // incToNextRow: gra SRD += inc(lower)
s_addc_u32  s[sgprSrdD+1], s[sgprSrdD+1], 0        // incToNextRow: gra SRD += inc(upper)
_buffer_store_b32 v232, v10, s[sgprSrdD:sgprSrdD+3], 0, offen, offset:0,  sc0 sc1 // store D
v_cmp_u_f32 s[52:53], v[vgprValuC+234], v[vgprValuC+234] // check Nan
v_bfe_u32 v6, v[vgprValuC+234], 16, 1              // Non-Nan case: store lsb of bf16
v_add3_u32 v6, v[vgprValuC+234], v6, v9            // Non-Nan case: add lsb and the increment for rounding
v_cndmask_b32 v[vgprValuC+234], v6, v8, s[52:53]   // 
v_lshrrev_b32 v[vgprValuC+234], 16, v[vgprValuC+234] // convert C to bf16
v_cmp_u_f32 s[52:53], v[vgprValuC+235], v[vgprValuC+235] // check Nan
v_bfe_u32 v6, v[vgprValuC+235], 16, 1              // Non-Nan case: store lsb of bf16
v_add3_u32 v6, v[vgprValuC+235], v6, v9            // Non-Nan case: add lsb and the increment for rounding
v_cndmask_b32 v[vgprValuC+235], v6, v8, s[52:53]   // 
v_and_or_b32 v234, v[vgprValuC+235], v7, v[vgprValuC+234] // pack two bf16 to dword
_buffer_store_b32 v234, v10, s[sgprSrdD:sgprSrdD+3], 0, offen, offset:128,  sc0 sc1 // store D
v_cmp_u_f32 s[52:53], v[vgprValuC+236], v[vgprValuC+236] // check Nan
v_bfe_u32 v6, v[vgprValuC+236], 16, 1              // Non-Nan case: store lsb of bf16
v_add3_u32 v6, v[vgprValuC+236], v6, v9            // Non-Nan case: add lsb and the increment for rounding
v_cndmask_b32 v[vgprValuC+236], v6, v8, s[52:53]   // 
v_lshrrev_b32 v[vgprValuC+236], 16, v[vgprValuC+236] // convert C to bf16
v_cmp_u_f32 s[52:53], v[vgprValuC+237], v[vgprValuC+237] // check Nan
v_bfe_u32 v6, v[vgprValuC+237], 16, 1              // Non-Nan case: store lsb of bf16
v_add3_u32 v6, v[vgprValuC+237], v6, v9            // Non-Nan case: add lsb and the increment for rounding
v_cndmask_b32 v[vgprValuC+237], v6, v8, s[52:53]   // 
v_and_or_b32 v236, v[vgprValuC+237], v7, v[vgprValuC+236] // pack two bf16 to dword
	;; [unrolled: 11-line block ×4, first 2 shown]
s_mul_i32 s52, s[sgprStrideD1J], 58                // scale StrideD *= numRows(29) * bpe
s_add_u32  s[sgprSrdD+0], s[sgprSrdD+0], s52       // incToNextRow: gra SRD += inc(lower)
s_addc_u32  s[sgprSrdD+1], s[sgprSrdD+1], 0        // incToNextRow: gra SRD += inc(upper)
_buffer_store_b32 v240, v10, s[sgprSrdD:sgprSrdD+3], 0, offen, offset:0,  sc0 sc1 // store D
v_cmp_u_f32 s[52:53], v[vgprValuC+242], v[vgprValuC+242] // check Nan
v_bfe_u32 v6, v[vgprValuC+242], 16, 1              // Non-Nan case: store lsb of bf16
v_add3_u32 v6, v[vgprValuC+242], v6, v9            // Non-Nan case: add lsb and the increment for rounding
v_cndmask_b32 v[vgprValuC+242], v6, v8, s[52:53]   // 
v_lshrrev_b32 v[vgprValuC+242], 16, v[vgprValuC+242] // convert C to bf16
v_cmp_u_f32 s[52:53], v[vgprValuC+243], v[vgprValuC+243] // check Nan
v_bfe_u32 v6, v[vgprValuC+243], 16, 1              // Non-Nan case: store lsb of bf16
v_add3_u32 v6, v[vgprValuC+243], v6, v9            // Non-Nan case: add lsb and the increment for rounding
v_cndmask_b32 v[vgprValuC+243], v6, v8, s[52:53]   // 
v_and_or_b32 v242, v[vgprValuC+243], v7, v[vgprValuC+242] // pack two bf16 to dword
_buffer_store_b32 v242, v10, s[sgprSrdD:sgprSrdD+3], 0, offen, offset:128,  sc0 sc1 // store D
v_cmp_u_f32 s[52:53], v[vgprValuC+244], v[vgprValuC+244] // check Nan
v_bfe_u32 v6, v[vgprValuC+244], 16, 1              // Non-Nan case: store lsb of bf16
v_add3_u32 v6, v[vgprValuC+244], v6, v9            // Non-Nan case: add lsb and the increment for rounding
v_cndmask_b32 v[vgprValuC+244], v6, v8, s[52:53]   // 
v_lshrrev_b32 v[vgprValuC+244], 16, v[vgprValuC+244] // convert C to bf16
v_cmp_u_f32 s[52:53], v[vgprValuC+245], v[vgprValuC+245] // check Nan
v_bfe_u32 v6, v[vgprValuC+245], 16, 1              // Non-Nan case: store lsb of bf16
v_add3_u32 v6, v[vgprValuC+245], v6, v9            // Non-Nan case: add lsb and the increment for rounding
v_cndmask_b32 v[vgprValuC+245], v6, v8, s[52:53]   // 
v_and_or_b32 v244, v[vgprValuC+245], v7, v[vgprValuC+244] // pack two bf16 to dword
	;; [unrolled: 11-line block ×4, first 2 shown]
s_lshl_b32  s52, s[sgprStrideD1J], 1               // incToNextRow: Scale by BPE
s_add_u32  s[sgprSrdD+0], s[sgprSrdD+0], s52       // incToNextRow: gra SRD += inc(lower)
s_addc_u32  s[sgprSrdD+1], s[sgprSrdD+1], 0        // incToNextRow: gra SRD += inc(upper)
_buffer_store_b32 v248, v10, s[sgprSrdD:sgprSrdD+3], 0, offen, offset:0,  sc0 sc1 // store D
v_cmp_u_f32 s[52:53], v[vgprValuC+250], v[vgprValuC+250] // check Nan
v_bfe_u32 v6, v[vgprValuC+250], 16, 1              // Non-Nan case: store lsb of bf16
v_add3_u32 v6, v[vgprValuC+250], v6, v9            // Non-Nan case: add lsb and the increment for rounding
v_cndmask_b32 v[vgprValuC+250], v6, v8, s[52:53]   // 
v_lshrrev_b32 v[vgprValuC+250], 16, v[vgprValuC+250] // convert C to bf16
v_cmp_u_f32 s[52:53], v[vgprValuC+251], v[vgprValuC+251] // check Nan
v_bfe_u32 v6, v[vgprValuC+251], 16, 1              // Non-Nan case: store lsb of bf16
v_add3_u32 v6, v[vgprValuC+251], v6, v9            // Non-Nan case: add lsb and the increment for rounding
v_cndmask_b32 v[vgprValuC+251], v6, v8, s[52:53]   // 
v_and_or_b32 v250, v[vgprValuC+251], v7, v[vgprValuC+250] // pack two bf16 to dword
_buffer_store_b32 v250, v10, s[sgprSrdD:sgprSrdD+3], 0, offen, offset:128,  sc0 sc1 // store D
v_cmp_u_f32 s[52:53], v[vgprValuC+252], v[vgprValuC+252] // check Nan
v_bfe_u32 v6, v[vgprValuC+252], 16, 1              // Non-Nan case: store lsb of bf16
v_add3_u32 v6, v[vgprValuC+252], v6, v9            // Non-Nan case: add lsb and the increment for rounding
v_cndmask_b32 v[vgprValuC+252], v6, v8, s[52:53]   // 
v_lshrrev_b32 v[vgprValuC+252], 16, v[vgprValuC+252] // convert C to bf16
v_cmp_u_f32 s[52:53], v[vgprValuC+253], v[vgprValuC+253] // check Nan
v_bfe_u32 v6, v[vgprValuC+253], 16, 1              // Non-Nan case: store lsb of bf16
v_add3_u32 v6, v[vgprValuC+253], v6, v9            // Non-Nan case: add lsb and the increment for rounding
v_cndmask_b32 v[vgprValuC+253], v6, v8, s[52:53]   // 
v_and_or_b32 v252, v[vgprValuC+253], v7, v[vgprValuC+252] // pack two bf16 to dword
	;; [unrolled: 11-line block ×3, first 2 shown]
_buffer_store_b32 v254, v10, s[sgprSrdD:sgprSrdD+3], 0, offen, offset:384,  sc0 sc1 // store D
s_nop 0                                            // 1 wait state required when next inst writes vgprs held by previous dwordx4 store inst
/* optSingleColVgpr=1 optSharedColVgpr=0 optSGPRUsage=BufferLoad_Mask optSrdIncForRow=1 */

/******************************************/
/* Global Write Batch #1 (d1,d0,vc1,vc0) = */
/*    (7,0,2,0:vw2); (7,1,2,0:vw2); (7,2,2,0:vw2); (7,3,2,0:vw2); (7,0,3,0:vw2); (7,1,3,0:vw2); (7,2,3,0:vw2); (7,3,3,0:vw2) */
/******************************************/

/* calc coords, apply mask, and issue loads (if necessary) */
/* (d1,vc1,d0,vc0)=(7,2,0,0) */
/* (d1,vc1,d0,vc0)=(7,2,1,0) */
	;; [unrolled: 1-line block ×8, first 2 shown]
v_accvgpr_read_b32 v[vgprValuC+12], acc226 // copy acc to vreg[240]
v_accvgpr_read_b32 v[vgprValuC+13], acc230 // copy acc to vreg[241]
v_accvgpr_read_b32 v[vgprValuC+14], acc234 // copy acc to vreg[242]
v_accvgpr_read_b32 v[vgprValuC+15], acc238 // copy acc to vreg[243]
v_accvgpr_read_b32 v[vgprValuC+16], acc242 // copy acc to vreg[244]
v_accvgpr_read_b32 v[vgprValuC+17], acc246 // copy acc to vreg[245]
v_accvgpr_read_b32 v[vgprValuC+18], acc250 // copy acc to vreg[246]
v_accvgpr_read_b32 v[vgprValuC+19], acc254 // copy acc to vreg[247]
v_accvgpr_read_b32 v[vgprValuC+20], acc227 // copy acc to vreg[248]
v_accvgpr_read_b32 v[vgprValuC+21], acc231 // copy acc to vreg[249]
v_accvgpr_read_b32 v[vgprValuC+22], acc235 // copy acc to vreg[250]
v_accvgpr_read_b32 v[vgprValuC+23], acc239 // copy acc to vreg[251]
v_accvgpr_read_b32 v[vgprValuC+24], acc243 // copy acc to vreg[252]
v_accvgpr_read_b32 v[vgprValuC+25], acc247 // copy acc to vreg[253]
v_accvgpr_read_b32 v[vgprValuC+26], acc251 // copy acc to vreg[254]
v_accvgpr_read_b32 v[vgprValuC+27], acc255 // copy acc to vreg[255]
s_nop 1                                            // 2 wait states required before reading vgpr

/* apply mask, calc new C and issue writes */
v_mov_b32 v7, 0xffff0000                           // mask for pack two bfloat16 element to 32bit
v_mov_b32 v8, 0x7fff0000                           // fp32 Nan
v_mov_b32 v9, 0x7fff                               // rounding bias for bfloat16
v_cmp_u_f32 s[52:53], v[vgprValuC+12], v[vgprValuC+12] // check Nan
v_bfe_u32 v6, v[vgprValuC+12], 16, 1               // Non-Nan case: store lsb of bf16
v_add3_u32 v6, v[vgprValuC+12], v6, v9             // Non-Nan case: add lsb and the increment for rounding
v_cndmask_b32 v[vgprValuC+12], v6, v8, s[52:53]    // 
v_lshrrev_b32 v[vgprValuC+12], 16, v[vgprValuC+12] // convert C to bf16
v_cmp_u_f32 s[52:53], v[vgprValuC+13], v[vgprValuC+13] // check Nan
v_bfe_u32 v6, v[vgprValuC+13], 16, 1               // Non-Nan case: store lsb of bf16
v_add3_u32 v6, v[vgprValuC+13], v6, v9             // Non-Nan case: add lsb and the increment for rounding
v_cndmask_b32 v[vgprValuC+13], v6, v8, s[52:53]    // 
v_and_or_b32 v12, v[vgprValuC+13], v7, v[vgprValuC+12] // pack two bf16 to dword
s_lshl_b32  s52, s[sgprStrideD1J], 1               // incToNextRow: Scale by BPE
s_add_u32  s[sgprSrdD+0], s[sgprSrdD+0], s52       // incToNextRow: gra SRD += inc(lower)
s_addc_u32  s[sgprSrdD+1], s[sgprSrdD+1], 0        // incToNextRow: gra SRD += inc(upper)
_buffer_store_b32 v12, v10, s[sgprSrdD:sgprSrdD+3], 0, offen, offset:0,  sc0 sc1 // store D
v_cmp_u_f32 s[52:53], v[vgprValuC+14], v[vgprValuC+14] // check Nan
v_bfe_u32 v6, v[vgprValuC+14], 16, 1               // Non-Nan case: store lsb of bf16
v_add3_u32 v6, v[vgprValuC+14], v6, v9             // Non-Nan case: add lsb and the increment for rounding
v_cndmask_b32 v[vgprValuC+14], v6, v8, s[52:53]    // 
v_lshrrev_b32 v[vgprValuC+14], 16, v[vgprValuC+14] // convert C to bf16
v_cmp_u_f32 s[52:53], v[vgprValuC+15], v[vgprValuC+15] // check Nan
v_bfe_u32 v6, v[vgprValuC+15], 16, 1               // Non-Nan case: store lsb of bf16
v_add3_u32 v6, v[vgprValuC+15], v6, v9             // Non-Nan case: add lsb and the increment for rounding
v_cndmask_b32 v[vgprValuC+15], v6, v8, s[52:53]    // 
v_and_or_b32 v14, v[vgprValuC+15], v7, v[vgprValuC+14] // pack two bf16 to dword
_buffer_store_b32 v14, v10, s[sgprSrdD:sgprSrdD+3], 0, offen, offset:128,  sc0 sc1 // store D
v_cmp_u_f32 s[52:53], v[vgprValuC+16], v[vgprValuC+16] // check Nan
v_bfe_u32 v6, v[vgprValuC+16], 16, 1               // Non-Nan case: store lsb of bf16
v_add3_u32 v6, v[vgprValuC+16], v6, v9             // Non-Nan case: add lsb and the increment for rounding
v_cndmask_b32 v[vgprValuC+16], v6, v8, s[52:53]    // 
v_lshrrev_b32 v[vgprValuC+16], 16, v[vgprValuC+16] // convert C to bf16
v_cmp_u_f32 s[52:53], v[vgprValuC+17], v[vgprValuC+17] // check Nan
v_bfe_u32 v6, v[vgprValuC+17], 16, 1               // Non-Nan case: store lsb of bf16
v_add3_u32 v6, v[vgprValuC+17], v6, v9             // Non-Nan case: add lsb and the increment for rounding
v_cndmask_b32 v[vgprValuC+17], v6, v8, s[52:53]    // 
v_and_or_b32 v16, v[vgprValuC+17], v7, v[vgprValuC+16] // pack two bf16 to dword
	;; [unrolled: 11-line block ×4, first 2 shown]
s_lshl_b32  s52, s[sgprStrideD1J], 1               // incToNextRow: Scale by BPE
s_add_u32  s[sgprSrdD+0], s[sgprSrdD+0], s52       // incToNextRow: gra SRD += inc(lower)
s_addc_u32  s[sgprSrdD+1], s[sgprSrdD+1], 0        // incToNextRow: gra SRD += inc(upper)
_buffer_store_b32 v20, v10, s[sgprSrdD:sgprSrdD+3], 0, offen, offset:0,  sc0 sc1 // store D
v_cmp_u_f32 s[52:53], v[vgprValuC+22], v[vgprValuC+22] // check Nan
v_bfe_u32 v6, v[vgprValuC+22], 16, 1               // Non-Nan case: store lsb of bf16
v_add3_u32 v6, v[vgprValuC+22], v6, v9             // Non-Nan case: add lsb and the increment for rounding
v_cndmask_b32 v[vgprValuC+22], v6, v8, s[52:53]    // 
v_lshrrev_b32 v[vgprValuC+22], 16, v[vgprValuC+22] // convert C to bf16
v_cmp_u_f32 s[52:53], v[vgprValuC+23], v[vgprValuC+23] // check Nan
v_bfe_u32 v6, v[vgprValuC+23], 16, 1               // Non-Nan case: store lsb of bf16
v_add3_u32 v6, v[vgprValuC+23], v6, v9             // Non-Nan case: add lsb and the increment for rounding
v_cndmask_b32 v[vgprValuC+23], v6, v8, s[52:53]    // 
v_and_or_b32 v22, v[vgprValuC+23], v7, v[vgprValuC+22] // pack two bf16 to dword
_buffer_store_b32 v22, v10, s[sgprSrdD:sgprSrdD+3], 0, offen, offset:128,  sc0 sc1 // store D
v_cmp_u_f32 s[52:53], v[vgprValuC+24], v[vgprValuC+24] // check Nan
v_bfe_u32 v6, v[vgprValuC+24], 16, 1               // Non-Nan case: store lsb of bf16
v_add3_u32 v6, v[vgprValuC+24], v6, v9             // Non-Nan case: add lsb and the increment for rounding
v_cndmask_b32 v[vgprValuC+24], v6, v8, s[52:53]    // 
v_lshrrev_b32 v[vgprValuC+24], 16, v[vgprValuC+24] // convert C to bf16
v_cmp_u_f32 s[52:53], v[vgprValuC+25], v[vgprValuC+25] // check Nan
v_bfe_u32 v6, v[vgprValuC+25], 16, 1               // Non-Nan case: store lsb of bf16
v_add3_u32 v6, v[vgprValuC+25], v6, v9             // Non-Nan case: add lsb and the increment for rounding
v_cndmask_b32 v[vgprValuC+25], v6, v8, s[52:53]    // 
v_and_or_b32 v24, v[vgprValuC+25], v7, v[vgprValuC+24] // pack two bf16 to dword
	;; [unrolled: 11-line block ×3, first 2 shown]
_buffer_store_b32 v26, v10, s[sgprSrdD:sgprSrdD+3], 0, offen, offset:384,  sc0 sc1 // store D
s_nop 0                                            // 1 wait state required when next inst writes vgprs held by previous dwordx4 store inst
s_branch label_GW_End_23                           // jump to end
label_GW_End_23:

s_endpgm                                           // Kernel End
OptNLL_End_17:


/******************************************/
/* Ord. NoLoadLoop - Begin                                      */
/******************************************/




/* iter 0 (last unrolled loop) */

/*  grEndMfmaIndex:0, lwStartMfmaIndex:75, lwEndMfmaIndex:75  */
/*  numMfmaForLR:50, barrierMfmaIndex:77, LocalWritePerMfma:0.310 */
/*  mfmaIndex:0  */
s_waitcnt lgkmcnt(0)                               // lgkmcnt=0 vmcnt=-1wait for prior local read local write old=0, new=0 newLW=0 newLR=0
/* pack scheduling: packAIdx:2, packBIdx:2 */
v_perm_b32 v[vgprValuA_X0_I0+0], v[vgprValuA_X0_I0_D1+0], v[vgprValuA_X0_I0_D0+0], s[sgprPackKForV0] // select K=01 for vector=0
v_perm_b32 v[vgprValuA_X0_I0+1], v[vgprValuA_X0_I0_D3+0], v[vgprValuA_X0_I0_D2+0], s[sgprPackKForV0] // select K=23 for vector=0
v_or_b32 v[vgprValuB_X0_I0+0], v[vgprValuB_X0_I0+0], v[vgprValuB_X0_I0_D1+0] // pack two half Vgpr to one Vgpr
v_or_b32 v[vgprValuB_X0_I0+1], v[vgprValuB_X0_I0+1], v[vgprValuB_X0_I0_D1+1] // pack two half Vgpr to one Vgpr
v_perm_b32 v[vgprValuA_X0_I0+2], v[vgprValuA_X0_I0_D1+0], v[vgprValuA_X0_I0_D0+0], s[sgprPackKForV1] // select K=01 for vector=1
v_perm_b32 v[vgprValuA_X0_I0+3], v[vgprValuA_X0_I0_D3+0], v[vgprValuA_X0_I0_D2+0], s[sgprPackKForV1] // select K=23 for vector=1
v_mfma_f32_16x16x16_bf16 a[0+0:3+0], v[vgprValuB_X0_I0+0+0+0:vgprValuB_X0_I0+0+0+0+1], v[vgprValuA_X0_I0+0+0+0:vgprValuA_X0_I0+0+0+0+1], a[0:3]
/*  mfmaIndex:1  */
_ds_load_b32 v[vgprValuA_X1_I0_D0+0], v[vgprLocalReadAddrA] offset:8192 // L -> Reg lro=4096 swapByteOffset=0 ti=64 vIdx=0 rIdx=0 oIdx=0 buffer=1 iui=0
/* pack scheduling: packAIdx:4, packBIdx:2 */
v_perm_b32 v[vgprValuA_X0_I0+4], v[vgprValuA_X0_I0_D1+1], v[vgprValuA_X0_I0_D0+1], s[sgprPackKForV0] // select K=01 for vector=0
v_perm_b32 v[vgprValuA_X0_I0+5], v[vgprValuA_X0_I0_D3+1], v[vgprValuA_X0_I0_D2+1], s[sgprPackKForV0] // select K=23 for vector=0
v_mfma_f32_16x16x16_bf16 a[4+0:7+0], v[vgprValuB_X0_I0+0+0+0:vgprValuB_X0_I0+0+0+0+1], v[vgprValuA_X0_I0+2+0+0:vgprValuA_X0_I0+2+0+0+1], a[4:7]
/*  mfmaIndex:2  */
_ds_load_b32 v[vgprValuA_X1_I0_D1+0], v[vgprLocalReadAddrA] offset:8704 // L -> Reg lro=4096 swapByteOffset=0 ti=64 vIdx=0 rIdx=1 oIdx=0 buffer=1 iui=0
/* pack scheduling: packAIdx:6, packBIdx:2 */
v_perm_b32 v[vgprValuA_X0_I0+6], v[vgprValuA_X0_I0_D1+1], v[vgprValuA_X0_I0_D0+1], s[sgprPackKForV1] // select K=01 for vector=1
v_perm_b32 v[vgprValuA_X0_I0+7], v[vgprValuA_X0_I0_D3+1], v[vgprValuA_X0_I0_D2+1], s[sgprPackKForV1] // select K=23 for vector=1
v_mfma_f32_16x16x16_bf16 a[8+0:11+0], v[vgprValuB_X0_I0+0+0+0:vgprValuB_X0_I0+0+0+0+1], v[vgprValuA_X0_I0+4+0+0:vgprValuA_X0_I0+4+0+0+1], a[8:11]
/*  mfmaIndex:3  */
_ds_load_b32 v[vgprValuA_X1_I0_D2+0], v[vgprLocalReadAddrA] offset:9216 // L -> Reg lro=4096 swapByteOffset=0 ti=64 vIdx=0 rIdx=2 oIdx=0 buffer=1 iui=0
/* pack scheduling: packAIdx:8, packBIdx:2 */
v_perm_b32 v[vgprValuA_X0_I0+8], v[vgprValuA_X0_I0_D1+2], v[vgprValuA_X0_I0_D0+2], s[sgprPackKForV0] // select K=01 for vector=0
v_perm_b32 v[vgprValuA_X0_I0+9], v[vgprValuA_X0_I0_D3+2], v[vgprValuA_X0_I0_D2+2], s[sgprPackKForV0] // select K=23 for vector=0
v_mfma_f32_16x16x16_bf16 a[12+0:15+0], v[vgprValuB_X0_I0+0+0+0:vgprValuB_X0_I0+0+0+0+1], v[vgprValuA_X0_I0+6+0+0:vgprValuA_X0_I0+6+0+0+1], a[12:15]
/*  mfmaIndex:4  */
_ds_load_b32 v[vgprValuA_X1_I0_D3+0], v[vgprLocalReadAddrA] offset:9728 // L -> Reg lro=4096 swapByteOffset=0 ti=64 vIdx=0 rIdx=3 oIdx=0 buffer=1 iui=0
/* pack scheduling: packAIdx:10, packBIdx:2 */
v_perm_b32 v[vgprValuA_X0_I0+10], v[vgprValuA_X0_I0_D1+2], v[vgprValuA_X0_I0_D0+2], s[sgprPackKForV1] // select K=01 for vector=1
v_perm_b32 v[vgprValuA_X0_I0+11], v[vgprValuA_X0_I0_D3+2], v[vgprValuA_X0_I0_D2+2], s[sgprPackKForV1] // select K=23 for vector=1
v_mfma_f32_16x16x16_bf16 a[16+0:19+0], v[vgprValuB_X0_I0+0+0+0:vgprValuB_X0_I0+0+0+0+1], v[vgprValuA_X0_I0+8+0+0:vgprValuA_X0_I0+8+0+0+1], a[16:19]
/*  mfmaIndex:5  */
_ds_load_u16 v[vgprValuB_X1_I0+0], v[vgprLocalReadAddrB] offset:8448 // L -> Reg lro=4096 swapByteOffset=0 ti=32 vIdx=0 rIdx=0 oIdx=0 buffer=1 iui=0
/* pack scheduling: packAIdx:12, packBIdx:2 */
v_perm_b32 v[vgprValuA_X0_I0+12], v[vgprValuA_X0_I0_D1+3], v[vgprValuA_X0_I0_D0+3], s[sgprPackKForV0] // select K=01 for vector=0
v_perm_b32 v[vgprValuA_X0_I0+13], v[vgprValuA_X0_I0_D3+3], v[vgprValuA_X0_I0_D2+3], s[sgprPackKForV0] // select K=23 for vector=0
v_mfma_f32_16x16x16_bf16 a[20+0:23+0], v[vgprValuB_X0_I0+0+0+0:vgprValuB_X0_I0+0+0+0+1], v[vgprValuA_X0_I0+10+0+0:vgprValuA_X0_I0+10+0+0+1], a[20:23]
/*  mfmaIndex:6  */
_ds_load_u16_d16_hi v[vgprValuB_X1_I0_D1+0], v[vgprLocalReadAddrB] offset:8960 // L -> Reg lro=4096 swapByteOffset=0 ti=32 vIdx=0 rIdx=1 oIdx=0 buffer=1 iui=0
/* pack scheduling: packAIdx:14, packBIdx:2 */
v_perm_b32 v[vgprValuA_X0_I0+14], v[vgprValuA_X0_I0_D1+3], v[vgprValuA_X0_I0_D0+3], s[sgprPackKForV1] // select K=01 for vector=1
v_perm_b32 v[vgprValuA_X0_I0+15], v[vgprValuA_X0_I0_D3+3], v[vgprValuA_X0_I0_D2+3], s[sgprPackKForV1] // select K=23 for vector=1
v_mfma_f32_16x16x16_bf16 a[24+0:27+0], v[vgprValuB_X0_I0+0+0+0:vgprValuB_X0_I0+0+0+0+1], v[vgprValuA_X0_I0+12+0+0:vgprValuA_X0_I0+12+0+0+1], a[24:27]
/*  mfmaIndex:7  */
_ds_load_u16 v[vgprValuB_X1_I0+1], v[vgprLocalReadAddrB] offset:9472 // L -> Reg lro=4096 swapByteOffset=0 ti=32 vIdx=0 rIdx=2 oIdx=0 buffer=1 iui=0
/* pack scheduling: packAIdx:16, packBIdx:2 */
v_or_b32 v[vgprValuB_X0_I0+2], v[vgprValuB_X0_I0+2], v[vgprValuB_X0_I0_D1+2] // pack two half Vgpr to one Vgpr
v_or_b32 v[vgprValuB_X0_I0+3], v[vgprValuB_X0_I0+3], v[vgprValuB_X0_I0_D1+3] // pack two half Vgpr to one Vgpr
v_mfma_f32_16x16x16_bf16 a[28+0:31+0], v[vgprValuB_X0_I0+0+0+0:vgprValuB_X0_I0+0+0+0+1], v[vgprValuA_X0_I0+14+0+0:vgprValuA_X0_I0+14+0+0+1], a[28:31]
/*  mfmaIndex:8  */
_ds_load_u16_d16_hi v[vgprValuB_X1_I0_D1+1], v[vgprLocalReadAddrB] offset:9984 // L -> Reg lro=4096 swapByteOffset=0 ti=32 vIdx=0 rIdx=3 oIdx=0 buffer=1 iui=0
/* pack scheduling: packAIdx:16, packBIdx:4 */
v_or_b32 v[vgprValuB_X0_I0+4], v[vgprValuB_X0_I0+4], v[vgprValuB_X0_I0_D1+4] // pack two half Vgpr to one Vgpr
v_or_b32 v[vgprValuB_X0_I0+5], v[vgprValuB_X0_I0+5], v[vgprValuB_X0_I0_D1+5] // pack two half Vgpr to one Vgpr
v_mfma_f32_16x16x16_bf16 a[60+0:63+0], v[vgprValuB_X0_I0+2+0+0:vgprValuB_X0_I0+2+0+0+1], v[vgprValuA_X0_I0+14+0+0:vgprValuA_X0_I0+14+0+0+1], a[60:63]
/*  mfmaIndex:9  */
_ds_load_b32 v[vgprValuA_X1_I0_D0+1], v[vgprLocalReadAddrA] offset:8320 // L -> Reg lro=4096 swapByteOffset=0 ti=64 vIdx=1 rIdx=0 oIdx=0 buffer=1 iui=0
/* pack scheduling: packAIdx:16, packBIdx:4 */
v_or_b32 v[vgprValuB_X0_I0+6], v[vgprValuB_X0_I0+6], v[vgprValuB_X0_I0_D1+6] // pack two half Vgpr to one Vgpr
v_or_b32 v[vgprValuB_X0_I0+7], v[vgprValuB_X0_I0+7], v[vgprValuB_X0_I0_D1+7] // pack two half Vgpr to one Vgpr
v_mfma_f32_16x16x16_bf16 a[56+0:59+0], v[vgprValuB_X0_I0+2+0+0:vgprValuB_X0_I0+2+0+0+1], v[vgprValuA_X0_I0+12+0+0:vgprValuA_X0_I0+12+0+0+1], a[56:59]
/*  mfmaIndex:10  */
_ds_load_b32 v[vgprValuA_X1_I0_D1+1], v[vgprLocalReadAddrA] offset:8832 // L -> Reg lro=4096 swapByteOffset=0 ti=64 vIdx=1 rIdx=1 oIdx=0 buffer=1 iui=0
/* pack scheduling: packAIdx:16, packBIdx:4 */
v_or_b32 v[vgprValuB_X0_I0+8], v[vgprValuB_X0_I0+8], v[vgprValuB_X0_I0_D1+8] // pack two half Vgpr to one Vgpr
v_or_b32 v[vgprValuB_X0_I0+9], v[vgprValuB_X0_I0+9], v[vgprValuB_X0_I0_D1+9] // pack two half Vgpr to one Vgpr
v_mfma_f32_16x16x16_bf16 a[52+0:55+0], v[vgprValuB_X0_I0+2+0+0:vgprValuB_X0_I0+2+0+0+1], v[vgprValuA_X0_I0+10+0+0:vgprValuA_X0_I0+10+0+0+1], a[52:55]
/*  mfmaIndex:11  */
_ds_load_b32 v[vgprValuA_X1_I0_D2+1], v[vgprLocalReadAddrA] offset:9344 // L -> Reg lro=4096 swapByteOffset=0 ti=64 vIdx=1 rIdx=2 oIdx=0 buffer=1 iui=0
/* pack scheduling: packAIdx:16, packBIdx:4 */
v_or_b32 v[vgprValuB_X0_I0+10], v[vgprValuB_X0_I0+10], v[vgprValuB_X0_I0_D1+10] // pack two half Vgpr to one Vgpr
v_or_b32 v[vgprValuB_X0_I0+11], v[vgprValuB_X0_I0+11], v[vgprValuB_X0_I0_D1+11] // pack two half Vgpr to one Vgpr
v_mfma_f32_16x16x16_bf16 a[48+0:51+0], v[vgprValuB_X0_I0+2+0+0:vgprValuB_X0_I0+2+0+0+1], v[vgprValuA_X0_I0+8+0+0:vgprValuA_X0_I0+8+0+0+1], a[48:51]
/*  mfmaIndex:12  */
_ds_load_b32 v[vgprValuA_X1_I0_D3+1], v[vgprLocalReadAddrA] offset:9856 // L -> Reg lro=4096 swapByteOffset=0 ti=64 vIdx=1 rIdx=3 oIdx=0 buffer=1 iui=0
/* pack scheduling: packAIdx:16, packBIdx:4 */
v_or_b32 v[vgprValuB_X0_I0+12], v[vgprValuB_X0_I0+12], v[vgprValuB_X0_I0_D1+12] // pack two half Vgpr to one Vgpr
v_or_b32 v[vgprValuB_X0_I0+13], v[vgprValuB_X0_I0+13], v[vgprValuB_X0_I0_D1+13] // pack two half Vgpr to one Vgpr
v_mfma_f32_16x16x16_bf16 a[44+0:47+0], v[vgprValuB_X0_I0+2+0+0:vgprValuB_X0_I0+2+0+0+1], v[vgprValuA_X0_I0+6+0+0:vgprValuA_X0_I0+6+0+0+1], a[44:47]
/*  mfmaIndex:13  */
_ds_load_b32 v[vgprValuA_X1_I0_D0+2], v[vgprLocalReadAddrA] offset:8448 // L -> Reg lro=4096 swapByteOffset=0 ti=64 vIdx=2 rIdx=0 oIdx=0 buffer=1 iui=0
/* pack scheduling: packAIdx:16, packBIdx:4 */
v_or_b32 v[vgprValuB_X0_I0+14], v[vgprValuB_X0_I0+14], v[vgprValuB_X0_I0_D1+14] // pack two half Vgpr to one Vgpr
v_or_b32 v[vgprValuB_X0_I0+15], v[vgprValuB_X0_I0+15], v[vgprValuB_X0_I0_D1+15] // pack two half Vgpr to one Vgpr
v_mfma_f32_16x16x16_bf16 a[40+0:43+0], v[vgprValuB_X0_I0+2+0+0:vgprValuB_X0_I0+2+0+0+1], v[vgprValuA_X0_I0+4+0+0:vgprValuA_X0_I0+4+0+0+1], a[40:43]
/*  mfmaIndex:14  */
_ds_load_b32 v[vgprValuA_X1_I0_D1+2], v[vgprLocalReadAddrA] offset:8960 // L -> Reg lro=4096 swapByteOffset=0 ti=64 vIdx=2 rIdx=1 oIdx=0 buffer=1 iui=0
v_mfma_f32_16x16x16_bf16 a[36+0:39+0], v[vgprValuB_X0_I0+2+0+0:vgprValuB_X0_I0+2+0+0+1], v[vgprValuA_X0_I0+2+0+0:vgprValuA_X0_I0+2+0+0+1], a[36:39]
/*  mfmaIndex:15  */
_ds_load_b32 v[vgprValuA_X1_I0_D2+2], v[vgprLocalReadAddrA] offset:9472 // L -> Reg lro=4096 swapByteOffset=0 ti=64 vIdx=2 rIdx=2 oIdx=0 buffer=1 iui=0
v_mfma_f32_16x16x16_bf16 a[32+0:35+0], v[vgprValuB_X0_I0+2+0+0:vgprValuB_X0_I0+2+0+0+1], v[vgprValuA_X0_I0+0+0+0:vgprValuA_X0_I0+0+0+0+1], a[32:35]
/*  mfmaIndex:16  */
_ds_load_b32 v[vgprValuA_X1_I0_D3+2], v[vgprLocalReadAddrA] offset:9984 // L -> Reg lro=4096 swapByteOffset=0 ti=64 vIdx=2 rIdx=3 oIdx=0 buffer=1 iui=0
v_mfma_f32_16x16x16_bf16 a[64+0:67+0], v[vgprValuB_X0_I0+4+0+0:vgprValuB_X0_I0+4+0+0+1], v[vgprValuA_X0_I0+0+0+0:vgprValuA_X0_I0+0+0+0+1], a[64:67]
/*  mfmaIndex:17  */
_ds_load_b32 v[vgprValuA_X1_I0_D0+3], v[vgprLocalReadAddrA] offset:8576 // L -> Reg lro=4096 swapByteOffset=0 ti=64 vIdx=3 rIdx=0 oIdx=0 buffer=1 iui=0
v_mfma_f32_16x16x16_bf16 a[68+0:71+0], v[vgprValuB_X0_I0+4+0+0:vgprValuB_X0_I0+4+0+0+1], v[vgprValuA_X0_I0+2+0+0:vgprValuA_X0_I0+2+0+0+1], a[68:71]
/*  mfmaIndex:18  */
_ds_load_b32 v[vgprValuA_X1_I0_D1+3], v[vgprLocalReadAddrA] offset:9088 // L -> Reg lro=4096 swapByteOffset=0 ti=64 vIdx=3 rIdx=1 oIdx=0 buffer=1 iui=0
v_mfma_f32_16x16x16_bf16 a[72+0:75+0], v[vgprValuB_X0_I0+4+0+0:vgprValuB_X0_I0+4+0+0+1], v[vgprValuA_X0_I0+4+0+0:vgprValuA_X0_I0+4+0+0+1], a[72:75]
/*  mfmaIndex:19  */
_ds_load_b32 v[vgprValuA_X1_I0_D2+3], v[vgprLocalReadAddrA] offset:9600 // L -> Reg lro=4096 swapByteOffset=0 ti=64 vIdx=3 rIdx=2 oIdx=0 buffer=1 iui=0
v_mfma_f32_16x16x16_bf16 a[76+0:79+0], v[vgprValuB_X0_I0+4+0+0:vgprValuB_X0_I0+4+0+0+1], v[vgprValuA_X0_I0+6+0+0:vgprValuA_X0_I0+6+0+0+1], a[76:79]
/*  mfmaIndex:20  */
_ds_load_b32 v[vgprValuA_X1_I0_D3+3], v[vgprLocalReadAddrA] offset:10112 // L -> Reg lro=4096 swapByteOffset=0 ti=64 vIdx=3 rIdx=3 oIdx=0 buffer=1 iui=0
v_mfma_f32_16x16x16_bf16 a[80+0:83+0], v[vgprValuB_X0_I0+4+0+0:vgprValuB_X0_I0+4+0+0+1], v[vgprValuA_X0_I0+8+0+0:vgprValuA_X0_I0+8+0+0+1], a[80:83]
/*  mfmaIndex:21  */
_ds_load_u16 v[vgprValuB_X1_I0+2], v[vgprLocalReadAddrB] offset:8512 // L -> Reg lro=4096 swapByteOffset=0 ti=32 vIdx=1 rIdx=0 oIdx=0 buffer=1 iui=0
v_mfma_f32_16x16x16_bf16 a[84+0:87+0], v[vgprValuB_X0_I0+4+0+0:vgprValuB_X0_I0+4+0+0+1], v[vgprValuA_X0_I0+10+0+0:vgprValuA_X0_I0+10+0+0+1], a[84:87]
/*  mfmaIndex:22  */
_ds_load_u16_d16_hi v[vgprValuB_X1_I0_D1+2], v[vgprLocalReadAddrB] offset:9024 // L -> Reg lro=4096 swapByteOffset=0 ti=32 vIdx=1 rIdx=1 oIdx=0 buffer=1 iui=0
v_mfma_f32_16x16x16_bf16 a[88+0:91+0], v[vgprValuB_X0_I0+4+0+0:vgprValuB_X0_I0+4+0+0+1], v[vgprValuA_X0_I0+12+0+0:vgprValuA_X0_I0+12+0+0+1], a[88:91]
/*  mfmaIndex:23  */
_ds_load_u16 v[vgprValuB_X1_I0+3], v[vgprLocalReadAddrB] offset:9536 // L -> Reg lro=4096 swapByteOffset=0 ti=32 vIdx=1 rIdx=2 oIdx=0 buffer=1 iui=0
v_mfma_f32_16x16x16_bf16 a[92+0:95+0], v[vgprValuB_X0_I0+4+0+0:vgprValuB_X0_I0+4+0+0+1], v[vgprValuA_X0_I0+14+0+0:vgprValuA_X0_I0+14+0+0+1], a[92:95]
/*  mfmaIndex:24  */
_ds_load_u16_d16_hi v[vgprValuB_X1_I0_D1+3], v[vgprLocalReadAddrB] offset:10048 // L -> Reg lro=4096 swapByteOffset=0 ti=32 vIdx=1 rIdx=3 oIdx=0 buffer=1 iui=0
	;; [unrolled: 6-line block ×14, first 2 shown]
v_mfma_f32_16x16x16_bf16 a[192+0:195+0], v[vgprValuB_X0_I0+12+0+0:vgprValuB_X0_I0+12+0+0+1], v[vgprValuA_X0_I0+0+0+0:vgprValuA_X0_I0+0+0+0+1], a[192:195]
/*  mfmaIndex:49  */
/* localReadsVacancy: latencyLeft 2 */
v_mfma_f32_16x16x16_bf16 a[196+0:199+0], v[vgprValuB_X0_I0+12+0+0:vgprValuB_X0_I0+12+0+0+1], v[vgprValuA_X0_I0+2+0+0:vgprValuA_X0_I0+2+0+0+1], a[196:199]
/*  mfmaIndex:50  */
/* localReadsVacancy: latencyLeft 2 */
	;; [unrolled: 3-line block ×15, first 2 shown]
v_mfma_f32_16x16x16_bf16 a[224+0:227+0], v[vgprValuB_X0_I0+14+0+0:vgprValuB_X0_I0+14+0+0+1], v[vgprValuA_X0_I0+0+0+0:vgprValuA_X0_I0+0+0+0+1], a[224:227]
/* numPrefetchIter=0 */
/* dataAtIterA=-1 numReadsIterA=1 skipReadsIterA=1 readsPerIterA=16 */
/* dataAtIterB=-1 numReadsIterB=1 skipReadsIterB=1 readsPerIterB=32 */


/* iter 1 (last unrolled loop) */

/*  grEndMfmaIndex:0, lwStartMfmaIndex:75, lwEndMfmaIndex:75  */
/*  numMfmaForLR:50, barrierMfmaIndex:77, LocalWritePerMfma:0.310 */
/*  mfmaIndex:64  */
s_waitcnt lgkmcnt(0)                               // lgkmcnt=0 vmcnt=-1wait for prior local read local write old=0, new=0 newLW=0 newLR=0
/* pack scheduling: packAIdx:2, packBIdx:2 */
v_perm_b32 v[vgprValuA_X1_I0+0], v[vgprValuA_X1_I0_D1+0], v[vgprValuA_X1_I0_D0+0], s[sgprPackKForV0] // select K=01 for vector=0
v_perm_b32 v[vgprValuA_X1_I0+1], v[vgprValuA_X1_I0_D3+0], v[vgprValuA_X1_I0_D2+0], s[sgprPackKForV0] // select K=23 for vector=0
v_or_b32 v[vgprValuB_X1_I0+0], v[vgprValuB_X1_I0+0], v[vgprValuB_X1_I0_D1+0] // pack two half Vgpr to one Vgpr
v_or_b32 v[vgprValuB_X1_I0+1], v[vgprValuB_X1_I0+1], v[vgprValuB_X1_I0_D1+1] // pack two half Vgpr to one Vgpr
v_perm_b32 v[vgprValuA_X1_I0+2], v[vgprValuA_X1_I0_D1+0], v[vgprValuA_X1_I0_D0+0], s[sgprPackKForV1] // select K=01 for vector=1
v_perm_b32 v[vgprValuA_X1_I0+3], v[vgprValuA_X1_I0_D3+0], v[vgprValuA_X1_I0_D2+0], s[sgprPackKForV1] // select K=23 for vector=1
v_mfma_f32_16x16x16_bf16 a[0+0:3+0], v[vgprValuB_X1_I0+0+0+0:vgprValuB_X1_I0+0+0+0+1], v[vgprValuA_X1_I0+0+0+0:vgprValuA_X1_I0+0+0+0+1], a[0:3]
/*  mfmaIndex:65  */
/* pack scheduling: packAIdx:4, packBIdx:2 */
v_perm_b32 v[vgprValuA_X1_I0+4], v[vgprValuA_X1_I0_D1+1], v[vgprValuA_X1_I0_D0+1], s[sgprPackKForV0] // select K=01 for vector=0
v_perm_b32 v[vgprValuA_X1_I0+5], v[vgprValuA_X1_I0_D3+1], v[vgprValuA_X1_I0_D2+1], s[sgprPackKForV0] // select K=23 for vector=0
v_mfma_f32_16x16x16_bf16 a[4+0:7+0], v[vgprValuB_X1_I0+0+0+0:vgprValuB_X1_I0+0+0+0+1], v[vgprValuA_X1_I0+2+0+0:vgprValuA_X1_I0+2+0+0+1], a[4:7]
/*  mfmaIndex:66  */
/* pack scheduling: packAIdx:6, packBIdx:2 */
v_perm_b32 v[vgprValuA_X1_I0+6], v[vgprValuA_X1_I0_D1+1], v[vgprValuA_X1_I0_D0+1], s[sgprPackKForV1] // select K=01 for vector=1
v_perm_b32 v[vgprValuA_X1_I0+7], v[vgprValuA_X1_I0_D3+1], v[vgprValuA_X1_I0_D2+1], s[sgprPackKForV1] // select K=23 for vector=1
v_mfma_f32_16x16x16_bf16 a[8+0:11+0], v[vgprValuB_X1_I0+0+0+0:vgprValuB_X1_I0+0+0+0+1], v[vgprValuA_X1_I0+4+0+0:vgprValuA_X1_I0+4+0+0+1], a[8:11]
/*  mfmaIndex:67  */
/* pack scheduling: packAIdx:8, packBIdx:2 */
v_perm_b32 v[vgprValuA_X1_I0+8], v[vgprValuA_X1_I0_D1+2], v[vgprValuA_X1_I0_D0+2], s[sgprPackKForV0] // select K=01 for vector=0
v_perm_b32 v[vgprValuA_X1_I0+9], v[vgprValuA_X1_I0_D3+2], v[vgprValuA_X1_I0_D2+2], s[sgprPackKForV0] // select K=23 for vector=0
v_mfma_f32_16x16x16_bf16 a[12+0:15+0], v[vgprValuB_X1_I0+0+0+0:vgprValuB_X1_I0+0+0+0+1], v[vgprValuA_X1_I0+6+0+0:vgprValuA_X1_I0+6+0+0+1], a[12:15]
/*  mfmaIndex:68  */
/* pack scheduling: packAIdx:10, packBIdx:2 */
v_perm_b32 v[vgprValuA_X1_I0+10], v[vgprValuA_X1_I0_D1+2], v[vgprValuA_X1_I0_D0+2], s[sgprPackKForV1] // select K=01 for vector=1
v_perm_b32 v[vgprValuA_X1_I0+11], v[vgprValuA_X1_I0_D3+2], v[vgprValuA_X1_I0_D2+2], s[sgprPackKForV1] // select K=23 for vector=1
v_mfma_f32_16x16x16_bf16 a[16+0:19+0], v[vgprValuB_X1_I0+0+0+0:vgprValuB_X1_I0+0+0+0+1], v[vgprValuA_X1_I0+8+0+0:vgprValuA_X1_I0+8+0+0+1], a[16:19]
/*  mfmaIndex:69  */
/* pack scheduling: packAIdx:12, packBIdx:2 */
v_perm_b32 v[vgprValuA_X1_I0+12], v[vgprValuA_X1_I0_D1+3], v[vgprValuA_X1_I0_D0+3], s[sgprPackKForV0] // select K=01 for vector=0
v_perm_b32 v[vgprValuA_X1_I0+13], v[vgprValuA_X1_I0_D3+3], v[vgprValuA_X1_I0_D2+3], s[sgprPackKForV0] // select K=23 for vector=0
v_mfma_f32_16x16x16_bf16 a[20+0:23+0], v[vgprValuB_X1_I0+0+0+0:vgprValuB_X1_I0+0+0+0+1], v[vgprValuA_X1_I0+10+0+0:vgprValuA_X1_I0+10+0+0+1], a[20:23]
/*  mfmaIndex:70  */
/* pack scheduling: packAIdx:14, packBIdx:2 */
v_perm_b32 v[vgprValuA_X1_I0+14], v[vgprValuA_X1_I0_D1+3], v[vgprValuA_X1_I0_D0+3], s[sgprPackKForV1] // select K=01 for vector=1
v_perm_b32 v[vgprValuA_X1_I0+15], v[vgprValuA_X1_I0_D3+3], v[vgprValuA_X1_I0_D2+3], s[sgprPackKForV1] // select K=23 for vector=1
v_mfma_f32_16x16x16_bf16 a[24+0:27+0], v[vgprValuB_X1_I0+0+0+0:vgprValuB_X1_I0+0+0+0+1], v[vgprValuA_X1_I0+12+0+0:vgprValuA_X1_I0+12+0+0+1], a[24:27]
/*  mfmaIndex:71  */
/* pack scheduling: packAIdx:16, packBIdx:2 */
v_or_b32 v[vgprValuB_X1_I0+2], v[vgprValuB_X1_I0+2], v[vgprValuB_X1_I0_D1+2] // pack two half Vgpr to one Vgpr
v_or_b32 v[vgprValuB_X1_I0+3], v[vgprValuB_X1_I0+3], v[vgprValuB_X1_I0_D1+3] // pack two half Vgpr to one Vgpr
v_mfma_f32_16x16x16_bf16 a[28+0:31+0], v[vgprValuB_X1_I0+0+0+0:vgprValuB_X1_I0+0+0+0+1], v[vgprValuA_X1_I0+14+0+0:vgprValuA_X1_I0+14+0+0+1], a[28:31]
/*  mfmaIndex:72  */
/* pack scheduling: packAIdx:16, packBIdx:4 */
v_or_b32 v[vgprValuB_X1_I0+4], v[vgprValuB_X1_I0+4], v[vgprValuB_X1_I0_D1+4] // pack two half Vgpr to one Vgpr
v_or_b32 v[vgprValuB_X1_I0+5], v[vgprValuB_X1_I0+5], v[vgprValuB_X1_I0_D1+5] // pack two half Vgpr to one Vgpr
	;; [unrolled: 5-line block ×3, first 2 shown]
v_mfma_f32_16x16x16_bf16 a[56+0:59+0], v[vgprValuB_X1_I0+2+0+0:vgprValuB_X1_I0+2+0+0+1], v[vgprValuA_X1_I0+12+0+0:vgprValuA_X1_I0+12+0+0+1], a[56:59]
/*  mfmaIndex:74  */
/* 1 LDS buffer: read-sync-write */
s_waitcnt lgkmcnt(0)                               // 
s_barrier                                          // 
/* pack scheduling: packAIdx:16, packBIdx:4 */
v_or_b32 v[vgprValuB_X1_I0+8], v[vgprValuB_X1_I0+8], v[vgprValuB_X1_I0_D1+8] // pack two half Vgpr to one Vgpr
v_or_b32 v[vgprValuB_X1_I0+9], v[vgprValuB_X1_I0+9], v[vgprValuB_X1_I0_D1+9] // pack two half Vgpr to one Vgpr
v_mfma_f32_16x16x16_bf16 a[52+0:55+0], v[vgprValuB_X1_I0+2+0+0:vgprValuB_X1_I0+2+0+0+1], v[vgprValuA_X1_I0+10+0+0:vgprValuA_X1_I0+10+0+0+1], a[52:55]
/*  mfmaIndex:75  */
s_setprio 3                                        // store optimization
/* pack scheduling: packAIdx:16, packBIdx:4 */
v_or_b32 v[vgprValuB_X1_I0+10], v[vgprValuB_X1_I0+10], v[vgprValuB_X1_I0_D1+10] // pack two half Vgpr to one Vgpr
v_or_b32 v[vgprValuB_X1_I0+11], v[vgprValuB_X1_I0+11], v[vgprValuB_X1_I0_D1+11] // pack two half Vgpr to one Vgpr
v_mfma_f32_16x16x16_bf16 a[48+0:51+0], v[vgprValuB_X1_I0+2+0+0:vgprValuB_X1_I0+2+0+0+1], v[vgprValuA_X1_I0+8+0+0:vgprValuA_X1_I0+8+0+0+1], a[48:51]
/*  mfmaIndex:76  */
/* pack scheduling: packAIdx:16, packBIdx:4 */
v_or_b32 v[vgprValuB_X1_I0+12], v[vgprValuB_X1_I0+12], v[vgprValuB_X1_I0_D1+12] // pack two half Vgpr to one Vgpr
v_or_b32 v[vgprValuB_X1_I0+13], v[vgprValuB_X1_I0+13], v[vgprValuB_X1_I0_D1+13] // pack two half Vgpr to one Vgpr
v_mfma_f32_16x16x16_bf16 a[44+0:47+0], v[vgprValuB_X1_I0+2+0+0:vgprValuB_X1_I0+2+0+0+1], v[vgprValuA_X1_I0+6+0+0:vgprValuA_X1_I0+6+0+0+1], a[44:47]
s_setprio 0                                        // store optimization
/*  mfmaIndex:77  */
/* pack scheduling: packAIdx:16, packBIdx:4 */
v_or_b32 v[vgprValuB_X1_I0+14], v[vgprValuB_X1_I0+14], v[vgprValuB_X1_I0_D1+14] // pack two half Vgpr to one Vgpr
v_or_b32 v[vgprValuB_X1_I0+15], v[vgprValuB_X1_I0+15], v[vgprValuB_X1_I0_D1+15] // pack two half Vgpr to one Vgpr
v_mfma_f32_16x16x16_bf16 a[40+0:43+0], v[vgprValuB_X1_I0+2+0+0:vgprValuB_X1_I0+2+0+0+1], v[vgprValuA_X1_I0+4+0+0:vgprValuA_X1_I0+4+0+0+1], a[40:43]
/*  mfmaIndex:78  */
s_setprio 3                                        // store optimization
v_mfma_f32_16x16x16_bf16 a[36+0:39+0], v[vgprValuB_X1_I0+2+0+0:vgprValuB_X1_I0+2+0+0+1], v[vgprValuA_X1_I0+2+0+0:vgprValuA_X1_I0+2+0+0+1], a[36:39]
/*  mfmaIndex:79  */
v_mfma_f32_16x16x16_bf16 a[32+0:35+0], v[vgprValuB_X1_I0+2+0+0:vgprValuB_X1_I0+2+0+0+1], v[vgprValuA_X1_I0+0+0+0:vgprValuA_X1_I0+0+0+0+1], a[32:35]
/*  mfmaIndex:80  */
	;; [unrolled: 2-line block ×49, first 2 shown]
v_mfma_f32_16x16x16_bf16 a[224+0:227+0], v[vgprValuB_X1_I0+14+0+0:vgprValuB_X1_I0+14+0+0+1], v[vgprValuA_X1_I0+0+0+0:vgprValuA_X1_I0+0+0+0+1], a[224:227]
/* numPrefetchIter=0 */
/* dataAtIterA=0 numReadsIterA=1 skipReadsIterA=0 readsPerIterA=16 */
/* dataAtIterB=0 numReadsIterB=1 skipReadsIterB=0 readsPerIterB=32 */

PrefetchGlobalLastIterEnd_5:

Summation_End_28:
s_setprio 0                                        // optimization store
/* endSummation: add vgpr [0...148) to pool */
.set NumFullBlocks, UNDEF
.set WgmRemainder1, UNDEF
.set MagicNumberWgmRemainder1, UNDEF
.set ScalarGlobalReadOffsetB, UNDEF

/* Mapping of Acc register -> C Vgpr register */


	;; [unrolled: 1-line block ×3, first 2 shown]
/* not-LocalSplitU: global write indices */

/* computeStoreVgprs */
v_lshrrev_b32 v4, 6, v[vgprSerial]                 // v4 = v[vgprSerial] / 64
v_and_b32 v1, 63, v[vgprSerial]                    // v1 = v[vgprSerial] % 64
v_lshrrev_b32 v1, 4, v1                            // v1 = v1 / 16
v_lshlrev_b32 v1, 0x2, v1                          // thread0 * continuous_output
v_lshrrev_b32 v5, 1, v4                            // v5 = v4 / 2
v_mul_lo_u32 v5, 0x10, v5                          // wave coordination offset 1
_v_add_lshl_u32 v1, v5, v1, 0                      // coordination 1 = vwb *(wave_id1 + tid1)
v_mul_lo_u32 v2, v1, s[sgprStrideC1J]              //  offset 1
v_mul_lo_u32 v3, v1, s[sgprStrideD1J]              //  offset 1
v_and_b32 v5, 1, v4                                // v5 = v4 % 2
v_mul_lo_u32 v5, 0x10, v5                          // wave coordination offset 0
v_and_b32 v0, 15, v[vgprSerial]                    // v0 = v[vgprSerial] % 16
_v_add_lshl_u32 v0, v5, v0, 1                      // coordination 0 = vwa *(wave_id0 + tid0)
s_mul_i32 s52, 256, s[sgprWorkGroup0]              // wgp0 * MT0
_v_add_u32 v0, s52, v0                             // coord 0 = (tid0/MI_m)*4 + waveG0*MIB_m + MT0*SG0
s_mul_i32 s52, 256, s[sgprWorkGroup1]              // wgp1 * MT1
_v_add_u32 v1, s52, v1                             // coord 1 = (tid0%MI_m) + waveG1*MIB_n + MT1*SG1


/* not-LocalSplitU: global write */

s_cmpk_eq_u32 s[sgprBeta], 0x0                     // Beta == 0
s_cbranch_scc0 GW_Beta_43                          // Branch if Beta is not zero

s_and_b32 s52, 255, s[sgprSizeI]                   // s52 = s[sgprSizeI] % 256
s_add_u32 s53, -0x1, s[sgprNumWorkGroups0]         // 
s_cmp_ge_u32 s[sgprWorkGroup0], s53                // wg0 >= nwg0-1 ?
s_cselect_b32 s52, s52, 0                          // set rMT0
s_cmpk_gt_u32 s52, 0x0                             // rMT0 > 0
s_cbranch_scc1 GW_B0_E1_34                         // jump if edges required
s_and_b32 s52, 255, s[sgprSizeJ]                   // s52 = s[sgprSizeJ] % 256
s_add_u32 s53, -0x1, s[sgprNumWorkGroups1]         // 
s_cmp_ge_u32 s[sgprWorkGroup1], s53                // wg1 >= nwg1-1
s_cselect_b32 s52, s52, 0                          // set rMT1
s_cmpk_gt_u32 s52, 0x0                             // rMT1 > 0
s_cbranch_scc1 GW_B0_E1_34                         // jump if edges required
GW_B0_E0_31:

/* edge=0, allocate 2 sgpr. perBatchTmpS=2 perBatchMaskS=0 perElementMaskS=0 elementsPerBatch=120 */
/* optSingleColVgpr=1 optSharedColVgpr=0 optSGPRUsage=BufferLoad_Mask optSrdIncForRow=1 */

/******************************************/
/* Global Write Alpha Batch #0 (d1,d0,vc1,vc0) = */
/*    (0,0,0,0:vw2); (0,1,0,0:vw2); (0,2,0,0:vw2); (0,3,0,0:vw2); (0,0,1,0:vw2); (0,1,1,0:vw2); (0,2,1,0:vw2); (0,3,1,0:vw2); (0,0,2,0:vw2); (0,1,2,0:vw2); (0,2,2,0:vw2); (0,3,2,0:vw2); (0,0,3,0:vw2); (0,1,3,0:vw2); (0,2,3,0:vw2); (0,3,3,0:vw2); (1,0,0,0:vw2); (1,1,0,0:vw2); (1,2,0,0:vw2); (1,3,0,0:vw2); (1,0,1,0:vw2); (1,1,1,0:vw2); (1,2,1,0:vw2); (1,3,1,0:vw2); (1,0,2,0:vw2); (1,1,2,0:vw2); (1,2,2,0:vw2); (1,3,2,0:vw2); (1,0,3,0:vw2); (1,1,3,0:vw2); (1,2,3,0:vw2); (1,3,3,0:vw2); (2,0,0,0:vw2); (2,1,0,0:vw2); (2,2,0,0:vw2); (2,3,0,0:vw2); (2,0,1,0:vw2); (2,1,1,0:vw2); (2,2,1,0:vw2); (2,3,1,0:vw2); (2,0,2,0:vw2); (2,1,2,0:vw2); (2,2,2,0:vw2); (2,3,2,0:vw2); (2,0,3,0:vw2); (2,1,3,0:vw2); (2,2,3,0:vw2); (2,3,3,0:vw2); (3,0,0,0:vw2); (3,1,0,0:vw2); (3,2,0,0:vw2); (3,3,0,0:vw2); (3,0,1,0:vw2); (3,1,1,0:vw2); (3,2,1,0:vw2); (3,3,1,0:vw2); (3,0,2,0:vw2); (3,1,2,0:vw2); (3,2,2,0:vw2); (3,3,2,0:vw2); (3,0,3,0:vw2); (3,1,3,0:vw2); (3,2,3,0:vw2); (3,3,3,0:vw2); (4,0,0,0:vw2); (4,1,0,0:vw2); (4,2,0,0:vw2); (4,3,0,0:vw2); (4,0,1,0:vw2); (4,1,1,0:vw2); (4,2,1,0:vw2); (4,3,1,0:vw2); (4,0,2,0:vw2); (4,1,2,0:vw2); (4,2,2,0:vw2); (4,3,2,0:vw2); (4,0,3,0:vw2); (4,1,3,0:vw2); (4,2,3,0:vw2); (4,3,3,0:vw2); (5,0,0,0:vw2); (5,1,0,0:vw2); (5,2,0,0:vw2); (5,3,0,0:vw2); (5,0,1,0:vw2); (5,1,1,0:vw2); (5,2,1,0:vw2); (5,3,1,0:vw2); (5,0,2,0:vw2); (5,1,2,0:vw2); (5,2,2,0:vw2); (5,3,2,0:vw2); (5,0,3,0:vw2); (5,1,3,0:vw2); (5,2,3,0:vw2); (5,3,3,0:vw2); (6,0,0,0:vw2); (6,1,0,0:vw2); (6,2,0,0:vw2); (6,3,0,0:vw2); (6,0,1,0:vw2); (6,1,1,0:vw2); (6,2,1,0:vw2); (6,3,1,0:vw2); (6,0,2,0:vw2); (6,1,2,0:vw2); (6,2,2,0:vw2); (6,3,2,0:vw2); (6,0,3,0:vw2); (6,1,3,0:vw2); (6,2,3,0:vw2); (6,3,3,0:vw2); (7,0,0,0:vw2); (7,1,0,0:vw2); (7,2,0,0:vw2); (7,3,0,0:vw2); (7,0,1,0:vw2); (7,1,1,0:vw2); (7,2,1,0:vw2); (7,3,1,0:vw2) */
/******************************************/

/* calc coords, apply mask, and issue loads (if necessary) */
/* (d1,vc1,d0,vc0)=(0,0,0,0) */
/* (d1,vc1,d0,vc0)=(0,0,1,0) */
	;; [unrolled: 1-line block ×120, first 2 shown]
_v_add_lshl_u32 v10, v3, v0, 0x1                   // optSingleColVgpr scaleToBpe: sharedAddrVgpr <- cinRowPtr + coord0, scaled by BPE. BSHERE:coord0=0, coord0Vgpr=0
v_accvgpr_read_b32 v[vgprValuC+12], acc0 // copy acc to vreg[0]
v_accvgpr_read_b32 v[vgprValuC+13], acc4 // copy acc to vreg[1]
v_accvgpr_read_b32 v[vgprValuC+14], acc8 // copy acc to vreg[2]
v_accvgpr_read_b32 v[vgprValuC+15], acc12 // copy acc to vreg[3]
v_accvgpr_read_b32 v[vgprValuC+16], acc16 // copy acc to vreg[4]
v_accvgpr_read_b32 v[vgprValuC+17], acc20 // copy acc to vreg[5]
v_accvgpr_read_b32 v[vgprValuC+18], acc24 // copy acc to vreg[6]
v_accvgpr_read_b32 v[vgprValuC+19], acc28 // copy acc to vreg[7]
v_accvgpr_read_b32 v[vgprValuC+20], acc1 // copy acc to vreg[8]
v_accvgpr_read_b32 v[vgprValuC+21], acc5 // copy acc to vreg[9]
v_accvgpr_read_b32 v[vgprValuC+22], acc9 // copy acc to vreg[10]
v_accvgpr_read_b32 v[vgprValuC+23], acc13 // copy acc to vreg[11]
v_accvgpr_read_b32 v[vgprValuC+24], acc17 // copy acc to vreg[12]
v_accvgpr_read_b32 v[vgprValuC+25], acc21 // copy acc to vreg[13]
v_accvgpr_read_b32 v[vgprValuC+26], acc25 // copy acc to vreg[14]
v_accvgpr_read_b32 v[vgprValuC+27], acc29 // copy acc to vreg[15]
v_accvgpr_read_b32 v[vgprValuC+28], acc2 // copy acc to vreg[16]
v_accvgpr_read_b32 v[vgprValuC+29], acc6 // copy acc to vreg[17]
v_accvgpr_read_b32 v[vgprValuC+30], acc10 // copy acc to vreg[18]
v_accvgpr_read_b32 v[vgprValuC+31], acc14 // copy acc to vreg[19]
v_accvgpr_read_b32 v[vgprValuC+32], acc18 // copy acc to vreg[20]
v_accvgpr_read_b32 v[vgprValuC+33], acc22 // copy acc to vreg[21]
v_accvgpr_read_b32 v[vgprValuC+34], acc26 // copy acc to vreg[22]
v_accvgpr_read_b32 v[vgprValuC+35], acc30 // copy acc to vreg[23]
v_accvgpr_read_b32 v[vgprValuC+36], acc3 // copy acc to vreg[24]
v_accvgpr_read_b32 v[vgprValuC+37], acc7 // copy acc to vreg[25]
v_accvgpr_read_b32 v[vgprValuC+38], acc11 // copy acc to vreg[26]
v_accvgpr_read_b32 v[vgprValuC+39], acc15 // copy acc to vreg[27]
v_accvgpr_read_b32 v[vgprValuC+40], acc19 // copy acc to vreg[28]
v_accvgpr_read_b32 v[vgprValuC+41], acc23 // copy acc to vreg[29]
v_accvgpr_read_b32 v[vgprValuC+42], acc27 // copy acc to vreg[30]
v_accvgpr_read_b32 v[vgprValuC+43], acc31 // copy acc to vreg[31]
v_accvgpr_read_b32 v[vgprValuC+44], acc32 // copy acc to vreg[32]
v_accvgpr_read_b32 v[vgprValuC+45], acc36 // copy acc to vreg[33]
v_accvgpr_read_b32 v[vgprValuC+46], acc40 // copy acc to vreg[34]
v_accvgpr_read_b32 v[vgprValuC+47], acc44 // copy acc to vreg[35]
v_accvgpr_read_b32 v[vgprValuC+48], acc48 // copy acc to vreg[36]
v_accvgpr_read_b32 v[vgprValuC+49], acc52 // copy acc to vreg[37]
v_accvgpr_read_b32 v[vgprValuC+50], acc56 // copy acc to vreg[38]
v_accvgpr_read_b32 v[vgprValuC+51], acc60 // copy acc to vreg[39]
v_accvgpr_read_b32 v[vgprValuC+52], acc33 // copy acc to vreg[40]
v_accvgpr_read_b32 v[vgprValuC+53], acc37 // copy acc to vreg[41]
v_accvgpr_read_b32 v[vgprValuC+54], acc41 // copy acc to vreg[42]
v_accvgpr_read_b32 v[vgprValuC+55], acc45 // copy acc to vreg[43]
v_accvgpr_read_b32 v[vgprValuC+56], acc49 // copy acc to vreg[44]
v_accvgpr_read_b32 v[vgprValuC+57], acc53 // copy acc to vreg[45]
v_accvgpr_read_b32 v[vgprValuC+58], acc57 // copy acc to vreg[46]
v_accvgpr_read_b32 v[vgprValuC+59], acc61 // copy acc to vreg[47]
v_accvgpr_read_b32 v[vgprValuC+60], acc34 // copy acc to vreg[48]
v_accvgpr_read_b32 v[vgprValuC+61], acc38 // copy acc to vreg[49]
v_accvgpr_read_b32 v[vgprValuC+62], acc42 // copy acc to vreg[50]
v_accvgpr_read_b32 v[vgprValuC+63], acc46 // copy acc to vreg[51]
v_accvgpr_read_b32 v[vgprValuC+64], acc50 // copy acc to vreg[52]
v_accvgpr_read_b32 v[vgprValuC+65], acc54 // copy acc to vreg[53]
v_accvgpr_read_b32 v[vgprValuC+66], acc58 // copy acc to vreg[54]
v_accvgpr_read_b32 v[vgprValuC+67], acc62 // copy acc to vreg[55]
v_accvgpr_read_b32 v[vgprValuC+68], acc35 // copy acc to vreg[56]
v_accvgpr_read_b32 v[vgprValuC+69], acc39 // copy acc to vreg[57]
v_accvgpr_read_b32 v[vgprValuC+70], acc43 // copy acc to vreg[58]
v_accvgpr_read_b32 v[vgprValuC+71], acc47 // copy acc to vreg[59]
v_accvgpr_read_b32 v[vgprValuC+72], acc51 // copy acc to vreg[60]
v_accvgpr_read_b32 v[vgprValuC+73], acc55 // copy acc to vreg[61]
v_accvgpr_read_b32 v[vgprValuC+74], acc59 // copy acc to vreg[62]
v_accvgpr_read_b32 v[vgprValuC+75], acc63 // copy acc to vreg[63]
v_accvgpr_read_b32 v[vgprValuC+76], acc64 // copy acc to vreg[64]
v_accvgpr_read_b32 v[vgprValuC+77], acc68 // copy acc to vreg[65]
v_accvgpr_read_b32 v[vgprValuC+78], acc72 // copy acc to vreg[66]
v_accvgpr_read_b32 v[vgprValuC+79], acc76 // copy acc to vreg[67]
v_accvgpr_read_b32 v[vgprValuC+80], acc80 // copy acc to vreg[68]
v_accvgpr_read_b32 v[vgprValuC+81], acc84 // copy acc to vreg[69]
v_accvgpr_read_b32 v[vgprValuC+82], acc88 // copy acc to vreg[70]
v_accvgpr_read_b32 v[vgprValuC+83], acc92 // copy acc to vreg[71]
v_accvgpr_read_b32 v[vgprValuC+84], acc65 // copy acc to vreg[72]
v_accvgpr_read_b32 v[vgprValuC+85], acc69 // copy acc to vreg[73]
v_accvgpr_read_b32 v[vgprValuC+86], acc73 // copy acc to vreg[74]
v_accvgpr_read_b32 v[vgprValuC+87], acc77 // copy acc to vreg[75]
v_accvgpr_read_b32 v[vgprValuC+88], acc81 // copy acc to vreg[76]
v_accvgpr_read_b32 v[vgprValuC+89], acc85 // copy acc to vreg[77]
v_accvgpr_read_b32 v[vgprValuC+90], acc89 // copy acc to vreg[78]
v_accvgpr_read_b32 v[vgprValuC+91], acc93 // copy acc to vreg[79]
v_accvgpr_read_b32 v[vgprValuC+92], acc66 // copy acc to vreg[80]
v_accvgpr_read_b32 v[vgprValuC+93], acc70 // copy acc to vreg[81]
v_accvgpr_read_b32 v[vgprValuC+94], acc74 // copy acc to vreg[82]
v_accvgpr_read_b32 v[vgprValuC+95], acc78 // copy acc to vreg[83]
v_accvgpr_read_b32 v[vgprValuC+96], acc82 // copy acc to vreg[84]
v_accvgpr_read_b32 v[vgprValuC+97], acc86 // copy acc to vreg[85]
v_accvgpr_read_b32 v[vgprValuC+98], acc90 // copy acc to vreg[86]
v_accvgpr_read_b32 v[vgprValuC+99], acc94 // copy acc to vreg[87]
v_accvgpr_read_b32 v[vgprValuC+100], acc67 // copy acc to vreg[88]
v_accvgpr_read_b32 v[vgprValuC+101], acc71 // copy acc to vreg[89]
v_accvgpr_read_b32 v[vgprValuC+102], acc75 // copy acc to vreg[90]
v_accvgpr_read_b32 v[vgprValuC+103], acc79 // copy acc to vreg[91]
v_accvgpr_read_b32 v[vgprValuC+104], acc83 // copy acc to vreg[92]
v_accvgpr_read_b32 v[vgprValuC+105], acc87 // copy acc to vreg[93]
v_accvgpr_read_b32 v[vgprValuC+106], acc91 // copy acc to vreg[94]
v_accvgpr_read_b32 v[vgprValuC+107], acc95 // copy acc to vreg[95]
v_accvgpr_read_b32 v[vgprValuC+108], acc96 // copy acc to vreg[96]
v_accvgpr_read_b32 v[vgprValuC+109], acc100 // copy acc to vreg[97]
v_accvgpr_read_b32 v[vgprValuC+110], acc104 // copy acc to vreg[98]
v_accvgpr_read_b32 v[vgprValuC+111], acc108 // copy acc to vreg[99]
v_accvgpr_read_b32 v[vgprValuC+112], acc112 // copy acc to vreg[100]
v_accvgpr_read_b32 v[vgprValuC+113], acc116 // copy acc to vreg[101]
v_accvgpr_read_b32 v[vgprValuC+114], acc120 // copy acc to vreg[102]
v_accvgpr_read_b32 v[vgprValuC+115], acc124 // copy acc to vreg[103]
v_accvgpr_read_b32 v[vgprValuC+116], acc97 // copy acc to vreg[104]
v_accvgpr_read_b32 v[vgprValuC+117], acc101 // copy acc to vreg[105]
v_accvgpr_read_b32 v[vgprValuC+118], acc105 // copy acc to vreg[106]
v_accvgpr_read_b32 v[vgprValuC+119], acc109 // copy acc to vreg[107]
v_accvgpr_read_b32 v[vgprValuC+120], acc113 // copy acc to vreg[108]
v_accvgpr_read_b32 v[vgprValuC+121], acc117 // copy acc to vreg[109]
v_accvgpr_read_b32 v[vgprValuC+122], acc121 // copy acc to vreg[110]
v_accvgpr_read_b32 v[vgprValuC+123], acc125 // copy acc to vreg[111]
v_accvgpr_read_b32 v[vgprValuC+124], acc98 // copy acc to vreg[112]
v_accvgpr_read_b32 v[vgprValuC+125], acc102 // copy acc to vreg[113]
v_accvgpr_read_b32 v[vgprValuC+126], acc106 // copy acc to vreg[114]
v_accvgpr_read_b32 v[vgprValuC+127], acc110 // copy acc to vreg[115]
v_accvgpr_read_b32 v[vgprValuC+128], acc114 // copy acc to vreg[116]
v_accvgpr_read_b32 v[vgprValuC+129], acc118 // copy acc to vreg[117]
v_accvgpr_read_b32 v[vgprValuC+130], acc122 // copy acc to vreg[118]
v_accvgpr_read_b32 v[vgprValuC+131], acc126 // copy acc to vreg[119]
v_accvgpr_read_b32 v[vgprValuC+132], acc99 // copy acc to vreg[120]
v_accvgpr_read_b32 v[vgprValuC+133], acc103 // copy acc to vreg[121]
v_accvgpr_read_b32 v[vgprValuC+134], acc107 // copy acc to vreg[122]
v_accvgpr_read_b32 v[vgprValuC+135], acc111 // copy acc to vreg[123]
v_accvgpr_read_b32 v[vgprValuC+136], acc115 // copy acc to vreg[124]
v_accvgpr_read_b32 v[vgprValuC+137], acc119 // copy acc to vreg[125]
v_accvgpr_read_b32 v[vgprValuC+138], acc123 // copy acc to vreg[126]
v_accvgpr_read_b32 v[vgprValuC+139], acc127 // copy acc to vreg[127]
v_accvgpr_read_b32 v[vgprValuC+140], acc128 // copy acc to vreg[128]
v_accvgpr_read_b32 v[vgprValuC+141], acc132 // copy acc to vreg[129]
v_accvgpr_read_b32 v[vgprValuC+142], acc136 // copy acc to vreg[130]
v_accvgpr_read_b32 v[vgprValuC+143], acc140 // copy acc to vreg[131]
v_accvgpr_read_b32 v[vgprValuC+144], acc144 // copy acc to vreg[132]
v_accvgpr_read_b32 v[vgprValuC+145], acc148 // copy acc to vreg[133]
v_accvgpr_read_b32 v[vgprValuC+146], acc152 // copy acc to vreg[134]
v_accvgpr_read_b32 v[vgprValuC+147], acc156 // copy acc to vreg[135]
v_accvgpr_read_b32 v[vgprValuC+152], acc129 // copy acc to vreg[136]
v_accvgpr_read_b32 v[vgprValuC+153], acc133 // copy acc to vreg[137]
v_accvgpr_read_b32 v[vgprValuC+154], acc137 // copy acc to vreg[138]
v_accvgpr_read_b32 v[vgprValuC+155], acc141 // copy acc to vreg[139]
v_accvgpr_read_b32 v[vgprValuC+156], acc145 // copy acc to vreg[140]
v_accvgpr_read_b32 v[vgprValuC+157], acc149 // copy acc to vreg[141]
v_accvgpr_read_b32 v[vgprValuC+158], acc153 // copy acc to vreg[142]
v_accvgpr_read_b32 v[vgprValuC+159], acc157 // copy acc to vreg[143]
v_accvgpr_read_b32 v[vgprValuC+160], acc130 // copy acc to vreg[144]
v_accvgpr_read_b32 v[vgprValuC+161], acc134 // copy acc to vreg[145]
v_accvgpr_read_b32 v[vgprValuC+162], acc138 // copy acc to vreg[146]
v_accvgpr_read_b32 v[vgprValuC+163], acc142 // copy acc to vreg[147]
v_accvgpr_read_b32 v[vgprValuC+164], acc146 // copy acc to vreg[148]
v_accvgpr_read_b32 v[vgprValuC+165], acc150 // copy acc to vreg[149]
v_accvgpr_read_b32 v[vgprValuC+166], acc154 // copy acc to vreg[150]
v_accvgpr_read_b32 v[vgprValuC+167], acc158 // copy acc to vreg[151]
v_accvgpr_read_b32 v[vgprValuC+168], acc131 // copy acc to vreg[152]
v_accvgpr_read_b32 v[vgprValuC+169], acc135 // copy acc to vreg[153]
v_accvgpr_read_b32 v[vgprValuC+170], acc139 // copy acc to vreg[154]
v_accvgpr_read_b32 v[vgprValuC+171], acc143 // copy acc to vreg[155]
v_accvgpr_read_b32 v[vgprValuC+172], acc147 // copy acc to vreg[156]
v_accvgpr_read_b32 v[vgprValuC+173], acc151 // copy acc to vreg[157]
v_accvgpr_read_b32 v[vgprValuC+174], acc155 // copy acc to vreg[158]
v_accvgpr_read_b32 v[vgprValuC+175], acc159 // copy acc to vreg[159]
v_accvgpr_read_b32 v[vgprValuC+176], acc160 // copy acc to vreg[160]
v_accvgpr_read_b32 v[vgprValuC+177], acc164 // copy acc to vreg[161]
v_accvgpr_read_b32 v[vgprValuC+178], acc168 // copy acc to vreg[162]
v_accvgpr_read_b32 v[vgprValuC+179], acc172 // copy acc to vreg[163]
v_accvgpr_read_b32 v[vgprValuC+180], acc176 // copy acc to vreg[164]
v_accvgpr_read_b32 v[vgprValuC+181], acc180 // copy acc to vreg[165]
v_accvgpr_read_b32 v[vgprValuC+182], acc184 // copy acc to vreg[166]
v_accvgpr_read_b32 v[vgprValuC+183], acc188 // copy acc to vreg[167]
v_accvgpr_read_b32 v[vgprValuC+184], acc161 // copy acc to vreg[168]
v_accvgpr_read_b32 v[vgprValuC+185], acc165 // copy acc to vreg[169]
v_accvgpr_read_b32 v[vgprValuC+186], acc169 // copy acc to vreg[170]
v_accvgpr_read_b32 v[vgprValuC+187], acc173 // copy acc to vreg[171]
v_accvgpr_read_b32 v[vgprValuC+188], acc177 // copy acc to vreg[172]
v_accvgpr_read_b32 v[vgprValuC+189], acc181 // copy acc to vreg[173]
v_accvgpr_read_b32 v[vgprValuC+190], acc185 // copy acc to vreg[174]
v_accvgpr_read_b32 v[vgprValuC+191], acc189 // copy acc to vreg[175]
v_accvgpr_read_b32 v[vgprValuC+192], acc162 // copy acc to vreg[176]
v_accvgpr_read_b32 v[vgprValuC+193], acc166 // copy acc to vreg[177]
v_accvgpr_read_b32 v[vgprValuC+194], acc170 // copy acc to vreg[178]
v_accvgpr_read_b32 v[vgprValuC+195], acc174 // copy acc to vreg[179]
v_accvgpr_read_b32 v[vgprValuC+196], acc178 // copy acc to vreg[180]
v_accvgpr_read_b32 v[vgprValuC+197], acc182 // copy acc to vreg[181]
v_accvgpr_read_b32 v[vgprValuC+198], acc186 // copy acc to vreg[182]
v_accvgpr_read_b32 v[vgprValuC+199], acc190 // copy acc to vreg[183]
v_accvgpr_read_b32 v[vgprValuC+200], acc163 // copy acc to vreg[184]
v_accvgpr_read_b32 v[vgprValuC+201], acc167 // copy acc to vreg[185]
v_accvgpr_read_b32 v[vgprValuC+202], acc171 // copy acc to vreg[186]
v_accvgpr_read_b32 v[vgprValuC+203], acc175 // copy acc to vreg[187]
v_accvgpr_read_b32 v[vgprValuC+204], acc179 // copy acc to vreg[188]
v_accvgpr_read_b32 v[vgprValuC+205], acc183 // copy acc to vreg[189]
v_accvgpr_read_b32 v[vgprValuC+206], acc187 // copy acc to vreg[190]
v_accvgpr_read_b32 v[vgprValuC+207], acc191 // copy acc to vreg[191]
v_accvgpr_read_b32 v[vgprValuC+208], acc192 // copy acc to vreg[192]
v_accvgpr_read_b32 v[vgprValuC+209], acc196 // copy acc to vreg[193]
v_accvgpr_read_b32 v[vgprValuC+210], acc200 // copy acc to vreg[194]
v_accvgpr_read_b32 v[vgprValuC+211], acc204 // copy acc to vreg[195]
v_accvgpr_read_b32 v[vgprValuC+212], acc208 // copy acc to vreg[196]
v_accvgpr_read_b32 v[vgprValuC+213], acc212 // copy acc to vreg[197]
v_accvgpr_read_b32 v[vgprValuC+214], acc216 // copy acc to vreg[198]
v_accvgpr_read_b32 v[vgprValuC+215], acc220 // copy acc to vreg[199]
v_accvgpr_read_b32 v[vgprValuC+216], acc193 // copy acc to vreg[200]
v_accvgpr_read_b32 v[vgprValuC+217], acc197 // copy acc to vreg[201]
v_accvgpr_read_b32 v[vgprValuC+218], acc201 // copy acc to vreg[202]
v_accvgpr_read_b32 v[vgprValuC+219], acc205 // copy acc to vreg[203]
v_accvgpr_read_b32 v[vgprValuC+220], acc209 // copy acc to vreg[204]
v_accvgpr_read_b32 v[vgprValuC+221], acc213 // copy acc to vreg[205]
v_accvgpr_read_b32 v[vgprValuC+222], acc217 // copy acc to vreg[206]
v_accvgpr_read_b32 v[vgprValuC+223], acc221 // copy acc to vreg[207]
v_accvgpr_read_b32 v[vgprValuC+224], acc194 // copy acc to vreg[208]
v_accvgpr_read_b32 v[vgprValuC+225], acc198 // copy acc to vreg[209]
v_accvgpr_read_b32 v[vgprValuC+226], acc202 // copy acc to vreg[210]
v_accvgpr_read_b32 v[vgprValuC+227], acc206 // copy acc to vreg[211]
v_accvgpr_read_b32 v[vgprValuC+228], acc210 // copy acc to vreg[212]
v_accvgpr_read_b32 v[vgprValuC+229], acc214 // copy acc to vreg[213]
v_accvgpr_read_b32 v[vgprValuC+230], acc218 // copy acc to vreg[214]
v_accvgpr_read_b32 v[vgprValuC+231], acc222 // copy acc to vreg[215]
v_accvgpr_read_b32 v[vgprValuC+232], acc195 // copy acc to vreg[216]
v_accvgpr_read_b32 v[vgprValuC+233], acc199 // copy acc to vreg[217]
v_accvgpr_read_b32 v[vgprValuC+234], acc203 // copy acc to vreg[218]
v_accvgpr_read_b32 v[vgprValuC+235], acc207 // copy acc to vreg[219]
v_accvgpr_read_b32 v[vgprValuC+236], acc211 // copy acc to vreg[220]
v_accvgpr_read_b32 v[vgprValuC+237], acc215 // copy acc to vreg[221]
v_accvgpr_read_b32 v[vgprValuC+238], acc219 // copy acc to vreg[222]
v_accvgpr_read_b32 v[vgprValuC+239], acc223 // copy acc to vreg[223]
v_accvgpr_read_b32 v[vgprValuC+240], acc224 // copy acc to vreg[224]
v_accvgpr_read_b32 v[vgprValuC+241], acc228 // copy acc to vreg[225]
v_accvgpr_read_b32 v[vgprValuC+242], acc232 // copy acc to vreg[226]
v_accvgpr_read_b32 v[vgprValuC+243], acc236 // copy acc to vreg[227]
v_accvgpr_read_b32 v[vgprValuC+244], acc240 // copy acc to vreg[228]
v_accvgpr_read_b32 v[vgprValuC+245], acc244 // copy acc to vreg[229]
v_accvgpr_read_b32 v[vgprValuC+246], acc248 // copy acc to vreg[230]
v_accvgpr_read_b32 v[vgprValuC+247], acc252 // copy acc to vreg[231]
v_accvgpr_read_b32 v[vgprValuC+248], acc225 // copy acc to vreg[232]
v_accvgpr_read_b32 v[vgprValuC+249], acc229 // copy acc to vreg[233]
v_accvgpr_read_b32 v[vgprValuC+250], acc233 // copy acc to vreg[234]
v_accvgpr_read_b32 v[vgprValuC+251], acc237 // copy acc to vreg[235]
v_accvgpr_read_b32 v[vgprValuC+252], acc241 // copy acc to vreg[236]
v_accvgpr_read_b32 v[vgprValuC+253], acc245 // copy acc to vreg[237]
v_accvgpr_read_b32 v[vgprValuC+254], acc249 // copy acc to vreg[238]
v_accvgpr_read_b32 v[vgprValuC+255], acc253 // copy acc to vreg[239]
s_nop 1                                            // 2 wait states required before reading vgpr

/* rC *= alpha batchElements=[(0, 0, 0, 0), (0, 1, 0, 0), (0, 2, 0, 0), (0, 3, 0, 0), (0, 0, 1, 0), (0, 1, 1, 0), (0, 2, 1, 0), (0, 3, 1, 0), (0, 0, 2, 0), (0, 1, 2, 0), (0, 2, 2, 0), (0, 3, 2, 0), (0, 0, 3, 0), (0, 1, 3, 0), (0, 2, 3, 0), (0, 3, 3, 0), (1, 0, 0, 0), (1, 1, 0, 0), (1, 2, 0, 0), (1, 3, 0, 0), (1, 0, 1, 0), (1, 1, 1, 0), (1, 2, 1, 0), (1, 3, 1, 0), (1, 0, 2, 0), (1, 1, 2, 0), (1, 2, 2, 0), (1, 3, 2, 0), (1, 0, 3, 0), (1, 1, 3, 0), (1, 2, 3, 0), (1, 3, 3, 0), (2, 0, 0, 0), (2, 1, 0, 0), (2, 2, 0, 0), (2, 3, 0, 0), (2, 0, 1, 0), (2, 1, 1, 0), (2, 2, 1, 0), (2, 3, 1, 0), (2, 0, 2, 0), (2, 1, 2, 0), (2, 2, 2, 0), (2, 3, 2, 0), (2, 0, 3, 0), (2, 1, 3, 0), (2, 2, 3, 0), (2, 3, 3, 0), (3, 0, 0, 0), (3, 1, 0, 0), (3, 2, 0, 0), (3, 3, 0, 0), (3, 0, 1, 0), (3, 1, 1, 0), (3, 2, 1, 0), (3, 3, 1, 0), (3, 0, 2, 0), (3, 1, 2, 0), (3, 2, 2, 0), (3, 3, 2, 0), (3, 0, 3, 0), (3, 1, 3, 0), (3, 2, 3, 0), (3, 3, 3, 0), (4, 0, 0, 0), (4, 1, 0, 0), (4, 2, 0, 0), (4, 3, 0, 0), (4, 0, 1, 0), (4, 1, 1, 0), (4, 2, 1, 0), (4, 3, 1, 0), (4, 0, 2, 0), (4, 1, 2, 0), (4, 2, 2, 0), (4, 3, 2, 0), (4, 0, 3, 0), (4, 1, 3, 0), (4, 2, 3, 0), (4, 3, 3, 0), (5, 0, 0, 0), (5, 1, 0, 0), (5, 2, 0, 0), (5, 3, 0, 0), (5, 0, 1, 0), (5, 1, 1, 0), (5, 2, 1, 0), (5, 3, 1, 0), (5, 0, 2, 0), (5, 1, 2, 0), (5, 2, 2, 0), (5, 3, 2, 0), (5, 0, 3, 0), (5, 1, 3, 0), (5, 2, 3, 0), (5, 3, 3, 0), (6, 0, 0, 0), (6, 1, 0, 0), (6, 2, 0, 0), (6, 3, 0, 0), (6, 0, 1, 0), (6, 1, 1, 0), (6, 2, 1, 0), (6, 3, 1, 0), (6, 0, 2, 0), (6, 1, 2, 0), (6, 2, 2, 0), (6, 3, 2, 0), (6, 0, 3, 0), (6, 1, 3, 0), (6, 2, 3, 0), (6, 3, 3, 0), (7, 0, 0, 0), (7, 1, 0, 0), (7, 2, 0, 0), (7, 3, 0, 0), (7, 0, 1, 0), (7, 1, 1, 0), (7, 2, 1, 0), (7, 3, 1, 0)] */
v_mul_f32 v[vgprValuC+12], s[sgprAlpha], v[vgprValuC+12] // *= alpha
v_mul_f32 v[vgprValuC+13], s[sgprAlpha], v[vgprValuC+13] // *= alpha
	;; [unrolled: 1-line block ×240, first 2 shown]

/* apply mask, calc new C and issue writes */
v_mov_b32 v7, 0xffff0000                           // mask for pack two bfloat16 element to 32bit
v_mov_b32 v8, 0x7fff0000                           // fp32 Nan
v_mov_b32 v9, 0x7fff                               // rounding bias for bfloat16
v_cmp_u_f32 s[52:53], v[vgprValuC+12], v[vgprValuC+12] // check Nan
v_bfe_u32 v6, v[vgprValuC+12], 16, 1               // Non-Nan case: store lsb of bf16
v_add3_u32 v6, v[vgprValuC+12], v6, v9             // Non-Nan case: add lsb and the increment for rounding
v_cndmask_b32 v[vgprValuC+12], v6, v8, s[52:53]    // 
v_lshrrev_b32 v[vgprValuC+12], 16, v[vgprValuC+12] // convert C to bf16
v_cmp_u_f32 s[52:53], v[vgprValuC+13], v[vgprValuC+13] // check Nan
v_bfe_u32 v6, v[vgprValuC+13], 16, 1               // Non-Nan case: store lsb of bf16
v_add3_u32 v6, v[vgprValuC+13], v6, v9             // Non-Nan case: add lsb and the increment for rounding
v_cndmask_b32 v[vgprValuC+13], v6, v8, s[52:53]    // 
v_and_or_b32 v12, v[vgprValuC+13], v7, v[vgprValuC+12] // pack two bf16 to dword
_buffer_store_b32 v12, v10, s[sgprSrdD:sgprSrdD+3], 0, offen, offset:0,  sc0 sc1 // store D
v_cmp_u_f32 s[52:53], v[vgprValuC+14], v[vgprValuC+14] // check Nan
v_bfe_u32 v6, v[vgprValuC+14], 16, 1               // Non-Nan case: store lsb of bf16
v_add3_u32 v6, v[vgprValuC+14], v6, v9             // Non-Nan case: add lsb and the increment for rounding
v_cndmask_b32 v[vgprValuC+14], v6, v8, s[52:53]    // 
v_lshrrev_b32 v[vgprValuC+14], 16, v[vgprValuC+14] // convert C to bf16
v_cmp_u_f32 s[52:53], v[vgprValuC+15], v[vgprValuC+15] // check Nan
v_bfe_u32 v6, v[vgprValuC+15], 16, 1               // Non-Nan case: store lsb of bf16
v_add3_u32 v6, v[vgprValuC+15], v6, v9             // Non-Nan case: add lsb and the increment for rounding
v_cndmask_b32 v[vgprValuC+15], v6, v8, s[52:53]    // 
v_and_or_b32 v14, v[vgprValuC+15], v7, v[vgprValuC+14] // pack two bf16 to dword
_buffer_store_b32 v14, v10, s[sgprSrdD:sgprSrdD+3], 0, offen, offset:128,  sc0 sc1 // store D
	;; [unrolled: 11-line block ×4, first 2 shown]
v_cmp_u_f32 s[52:53], v[vgprValuC+20], v[vgprValuC+20] // check Nan
v_bfe_u32 v6, v[vgprValuC+20], 16, 1               // Non-Nan case: store lsb of bf16
v_add3_u32 v6, v[vgprValuC+20], v6, v9             // Non-Nan case: add lsb and the increment for rounding
v_cndmask_b32 v[vgprValuC+20], v6, v8, s[52:53]    // 
v_lshrrev_b32 v[vgprValuC+20], 16, v[vgprValuC+20] // convert C to bf16
v_cmp_u_f32 s[52:53], v[vgprValuC+21], v[vgprValuC+21] // check Nan
v_bfe_u32 v6, v[vgprValuC+21], 16, 1               // Non-Nan case: store lsb of bf16
v_add3_u32 v6, v[vgprValuC+21], v6, v9             // Non-Nan case: add lsb and the increment for rounding
v_cndmask_b32 v[vgprValuC+21], v6, v8, s[52:53]    // 
v_and_or_b32 v20, v[vgprValuC+21], v7, v[vgprValuC+20] // pack two bf16 to dword
s_lshl_b32  s52, s[sgprStrideD1J], 1               // incToNextRow: Scale by BPE
s_add_u32  s[sgprSrdD+0], s[sgprSrdD+0], s52       // incToNextRow: gra SRD += inc(lower)
s_addc_u32  s[sgprSrdD+1], s[sgprSrdD+1], 0        // incToNextRow: gra SRD += inc(upper)
_buffer_store_b32 v20, v10, s[sgprSrdD:sgprSrdD+3], 0, offen, offset:0,  sc0 sc1 // store D
v_cmp_u_f32 s[52:53], v[vgprValuC+22], v[vgprValuC+22] // check Nan
v_bfe_u32 v6, v[vgprValuC+22], 16, 1               // Non-Nan case: store lsb of bf16
v_add3_u32 v6, v[vgprValuC+22], v6, v9             // Non-Nan case: add lsb and the increment for rounding
v_cndmask_b32 v[vgprValuC+22], v6, v8, s[52:53]    // 
v_lshrrev_b32 v[vgprValuC+22], 16, v[vgprValuC+22] // convert C to bf16
v_cmp_u_f32 s[52:53], v[vgprValuC+23], v[vgprValuC+23] // check Nan
v_bfe_u32 v6, v[vgprValuC+23], 16, 1               // Non-Nan case: store lsb of bf16
v_add3_u32 v6, v[vgprValuC+23], v6, v9             // Non-Nan case: add lsb and the increment for rounding
v_cndmask_b32 v[vgprValuC+23], v6, v8, s[52:53]    // 
v_and_or_b32 v22, v[vgprValuC+23], v7, v[vgprValuC+22] // pack two bf16 to dword
_buffer_store_b32 v22, v10, s[sgprSrdD:sgprSrdD+3], 0, offen, offset:128,  sc0 sc1 // store D
v_cmp_u_f32 s[52:53], v[vgprValuC+24], v[vgprValuC+24] // check Nan
v_bfe_u32 v6, v[vgprValuC+24], 16, 1               // Non-Nan case: store lsb of bf16
v_add3_u32 v6, v[vgprValuC+24], v6, v9             // Non-Nan case: add lsb and the increment for rounding
v_cndmask_b32 v[vgprValuC+24], v6, v8, s[52:53]    // 
v_lshrrev_b32 v[vgprValuC+24], 16, v[vgprValuC+24] // convert C to bf16
v_cmp_u_f32 s[52:53], v[vgprValuC+25], v[vgprValuC+25] // check Nan
v_bfe_u32 v6, v[vgprValuC+25], 16, 1               // Non-Nan case: store lsb of bf16
v_add3_u32 v6, v[vgprValuC+25], v6, v9             // Non-Nan case: add lsb and the increment for rounding
v_cndmask_b32 v[vgprValuC+25], v6, v8, s[52:53]    // 
v_and_or_b32 v24, v[vgprValuC+25], v7, v[vgprValuC+24] // pack two bf16 to dword
_buffer_store_b32 v24, v10, s[sgprSrdD:sgprSrdD+3], 0, offen, offset:256,  sc0 sc1 // store D
v_cmp_u_f32 s[52:53], v[vgprValuC+26], v[vgprValuC+26] // check Nan
v_bfe_u32 v6, v[vgprValuC+26], 16, 1               // Non-Nan case: store lsb of bf16
v_add3_u32 v6, v[vgprValuC+26], v6, v9             // Non-Nan case: add lsb and the increment for rounding
v_cndmask_b32 v[vgprValuC+26], v6, v8, s[52:53]    // 
v_lshrrev_b32 v[vgprValuC+26], 16, v[vgprValuC+26] // convert C to bf16
v_cmp_u_f32 s[52:53], v[vgprValuC+27], v[vgprValuC+27] // check Nan
v_bfe_u32 v6, v[vgprValuC+27], 16, 1               // Non-Nan case: store lsb of bf16
v_add3_u32 v6, v[vgprValuC+27], v6, v9             // Non-Nan case: add lsb and the increment for rounding
v_cndmask_b32 v[vgprValuC+27], v6, v8, s[52:53]    // 
v_and_or_b32 v26, v[vgprValuC+27], v7, v[vgprValuC+26] // pack two bf16 to dword
_buffer_store_b32 v26, v10, s[sgprSrdD:sgprSrdD+3], 0, offen, offset:384,  sc0 sc1 // store D
v_cmp_u_f32 s[52:53], v[vgprValuC+28], v[vgprValuC+28] // check Nan
v_bfe_u32 v6, v[vgprValuC+28], 16, 1               // Non-Nan case: store lsb of bf16
v_add3_u32 v6, v[vgprValuC+28], v6, v9             // Non-Nan case: add lsb and the increment for rounding
v_cndmask_b32 v[vgprValuC+28], v6, v8, s[52:53]    // 
v_lshrrev_b32 v[vgprValuC+28], 16, v[vgprValuC+28] // convert C to bf16
v_cmp_u_f32 s[52:53], v[vgprValuC+29], v[vgprValuC+29] // check Nan
v_bfe_u32 v6, v[vgprValuC+29], 16, 1               // Non-Nan case: store lsb of bf16
v_add3_u32 v6, v[vgprValuC+29], v6, v9             // Non-Nan case: add lsb and the increment for rounding
v_cndmask_b32 v[vgprValuC+29], v6, v8, s[52:53]    // 
v_and_or_b32 v28, v[vgprValuC+29], v7, v[vgprValuC+28] // pack two bf16 to dword
s_lshl_b32  s52, s[sgprStrideD1J], 1               // incToNextRow: Scale by BPE
s_add_u32  s[sgprSrdD+0], s[sgprSrdD+0], s52       // incToNextRow: gra SRD += inc(lower)
s_addc_u32  s[sgprSrdD+1], s[sgprSrdD+1], 0        // incToNextRow: gra SRD += inc(upper)
_buffer_store_b32 v28, v10, s[sgprSrdD:sgprSrdD+3], 0, offen, offset:0,  sc0 sc1 // store D
v_cmp_u_f32 s[52:53], v[vgprValuC+30], v[vgprValuC+30] // check Nan
v_bfe_u32 v6, v[vgprValuC+30], 16, 1               // Non-Nan case: store lsb of bf16
v_add3_u32 v6, v[vgprValuC+30], v6, v9             // Non-Nan case: add lsb and the increment for rounding
v_cndmask_b32 v[vgprValuC+30], v6, v8, s[52:53]    // 
v_lshrrev_b32 v[vgprValuC+30], 16, v[vgprValuC+30] // convert C to bf16
v_cmp_u_f32 s[52:53], v[vgprValuC+31], v[vgprValuC+31] // check Nan
v_bfe_u32 v6, v[vgprValuC+31], 16, 1               // Non-Nan case: store lsb of bf16
v_add3_u32 v6, v[vgprValuC+31], v6, v9             // Non-Nan case: add lsb and the increment for rounding
v_cndmask_b32 v[vgprValuC+31], v6, v8, s[52:53]    // 
v_and_or_b32 v30, v[vgprValuC+31], v7, v[vgprValuC+30] // pack two bf16 to dword
_buffer_store_b32 v30, v10, s[sgprSrdD:sgprSrdD+3], 0, offen, offset:128,  sc0 sc1 // store D
v_cmp_u_f32 s[52:53], v[vgprValuC+32], v[vgprValuC+32] // check Nan
v_bfe_u32 v6, v[vgprValuC+32], 16, 1               // Non-Nan case: store lsb of bf16
v_add3_u32 v6, v[vgprValuC+32], v6, v9             // Non-Nan case: add lsb and the increment for rounding
v_cndmask_b32 v[vgprValuC+32], v6, v8, s[52:53]    // 
v_lshrrev_b32 v[vgprValuC+32], 16, v[vgprValuC+32] // convert C to bf16
v_cmp_u_f32 s[52:53], v[vgprValuC+33], v[vgprValuC+33] // check Nan
v_bfe_u32 v6, v[vgprValuC+33], 16, 1               // Non-Nan case: store lsb of bf16
v_add3_u32 v6, v[vgprValuC+33], v6, v9             // Non-Nan case: add lsb and the increment for rounding
v_cndmask_b32 v[vgprValuC+33], v6, v8, s[52:53]    // 
v_and_or_b32 v32, v[vgprValuC+33], v7, v[vgprValuC+32] // pack two bf16 to dword
_buffer_store_b32 v32, v10, s[sgprSrdD:sgprSrdD+3], 0, offen, offset:256,  sc0 sc1 // store D
v_cmp_u_f32 s[52:53], v[vgprValuC+34], v[vgprValuC+34] // check Nan
v_bfe_u32 v6, v[vgprValuC+34], 16, 1               // Non-Nan case: store lsb of bf16
v_add3_u32 v6, v[vgprValuC+34], v6, v9             // Non-Nan case: add lsb and the increment for rounding
v_cndmask_b32 v[vgprValuC+34], v6, v8, s[52:53]    // 
v_lshrrev_b32 v[vgprValuC+34], 16, v[vgprValuC+34] // convert C to bf16
v_cmp_u_f32 s[52:53], v[vgprValuC+35], v[vgprValuC+35] // check Nan
v_bfe_u32 v6, v[vgprValuC+35], 16, 1               // Non-Nan case: store lsb of bf16
v_add3_u32 v6, v[vgprValuC+35], v6, v9             // Non-Nan case: add lsb and the increment for rounding
v_cndmask_b32 v[vgprValuC+35], v6, v8, s[52:53]    // 
v_and_or_b32 v34, v[vgprValuC+35], v7, v[vgprValuC+34] // pack two bf16 to dword
_buffer_store_b32 v34, v10, s[sgprSrdD:sgprSrdD+3], 0, offen, offset:384,  sc0 sc1 // store D
	;; [unrolled: 47-line block ×3, first 2 shown]
v_cmp_u_f32 s[52:53], v[vgprValuC+44], v[vgprValuC+44] // check Nan
v_bfe_u32 v6, v[vgprValuC+44], 16, 1               // Non-Nan case: store lsb of bf16
v_add3_u32 v6, v[vgprValuC+44], v6, v9             // Non-Nan case: add lsb and the increment for rounding
v_cndmask_b32 v[vgprValuC+44], v6, v8, s[52:53]    // 
v_lshrrev_b32 v[vgprValuC+44], 16, v[vgprValuC+44] // convert C to bf16
v_cmp_u_f32 s[52:53], v[vgprValuC+45], v[vgprValuC+45] // check Nan
v_bfe_u32 v6, v[vgprValuC+45], 16, 1               // Non-Nan case: store lsb of bf16
v_add3_u32 v6, v[vgprValuC+45], v6, v9             // Non-Nan case: add lsb and the increment for rounding
v_cndmask_b32 v[vgprValuC+45], v6, v8, s[52:53]    // 
v_and_or_b32 v44, v[vgprValuC+45], v7, v[vgprValuC+44] // pack two bf16 to dword
s_mul_i32 s52, s[sgprStrideD1J], 58                // scale StrideD *= numRows(29) * bpe
s_add_u32  s[sgprSrdD+0], s[sgprSrdD+0], s52       // incToNextRow: gra SRD += inc(lower)
s_addc_u32  s[sgprSrdD+1], s[sgprSrdD+1], 0        // incToNextRow: gra SRD += inc(upper)
_buffer_store_b32 v44, v10, s[sgprSrdD:sgprSrdD+3], 0, offen, offset:0,  sc0 sc1 // store D
v_cmp_u_f32 s[52:53], v[vgprValuC+46], v[vgprValuC+46] // check Nan
v_bfe_u32 v6, v[vgprValuC+46], 16, 1               // Non-Nan case: store lsb of bf16
v_add3_u32 v6, v[vgprValuC+46], v6, v9             // Non-Nan case: add lsb and the increment for rounding
v_cndmask_b32 v[vgprValuC+46], v6, v8, s[52:53]    // 
v_lshrrev_b32 v[vgprValuC+46], 16, v[vgprValuC+46] // convert C to bf16
v_cmp_u_f32 s[52:53], v[vgprValuC+47], v[vgprValuC+47] // check Nan
v_bfe_u32 v6, v[vgprValuC+47], 16, 1               // Non-Nan case: store lsb of bf16
v_add3_u32 v6, v[vgprValuC+47], v6, v9             // Non-Nan case: add lsb and the increment for rounding
v_cndmask_b32 v[vgprValuC+47], v6, v8, s[52:53]    // 
v_and_or_b32 v46, v[vgprValuC+47], v7, v[vgprValuC+46] // pack two bf16 to dword
_buffer_store_b32 v46, v10, s[sgprSrdD:sgprSrdD+3], 0, offen, offset:128,  sc0 sc1 // store D
v_cmp_u_f32 s[52:53], v[vgprValuC+48], v[vgprValuC+48] // check Nan
v_bfe_u32 v6, v[vgprValuC+48], 16, 1               // Non-Nan case: store lsb of bf16
v_add3_u32 v6, v[vgprValuC+48], v6, v9             // Non-Nan case: add lsb and the increment for rounding
v_cndmask_b32 v[vgprValuC+48], v6, v8, s[52:53]    // 
v_lshrrev_b32 v[vgprValuC+48], 16, v[vgprValuC+48] // convert C to bf16
v_cmp_u_f32 s[52:53], v[vgprValuC+49], v[vgprValuC+49] // check Nan
v_bfe_u32 v6, v[vgprValuC+49], 16, 1               // Non-Nan case: store lsb of bf16
v_add3_u32 v6, v[vgprValuC+49], v6, v9             // Non-Nan case: add lsb and the increment for rounding
v_cndmask_b32 v[vgprValuC+49], v6, v8, s[52:53]    // 
v_and_or_b32 v48, v[vgprValuC+49], v7, v[vgprValuC+48] // pack two bf16 to dword
_buffer_store_b32 v48, v10, s[sgprSrdD:sgprSrdD+3], 0, offen, offset:256,  sc0 sc1 // store D
v_cmp_u_f32 s[52:53], v[vgprValuC+50], v[vgprValuC+50] // check Nan
v_bfe_u32 v6, v[vgprValuC+50], 16, 1               // Non-Nan case: store lsb of bf16
v_add3_u32 v6, v[vgprValuC+50], v6, v9             // Non-Nan case: add lsb and the increment for rounding
v_cndmask_b32 v[vgprValuC+50], v6, v8, s[52:53]    // 
v_lshrrev_b32 v[vgprValuC+50], 16, v[vgprValuC+50] // convert C to bf16
v_cmp_u_f32 s[52:53], v[vgprValuC+51], v[vgprValuC+51] // check Nan
v_bfe_u32 v6, v[vgprValuC+51], 16, 1               // Non-Nan case: store lsb of bf16
v_add3_u32 v6, v[vgprValuC+51], v6, v9             // Non-Nan case: add lsb and the increment for rounding
v_cndmask_b32 v[vgprValuC+51], v6, v8, s[52:53]    // 
v_and_or_b32 v50, v[vgprValuC+51], v7, v[vgprValuC+50] // pack two bf16 to dword
_buffer_store_b32 v50, v10, s[sgprSrdD:sgprSrdD+3], 0, offen, offset:384,  sc0 sc1 // store D
v_cmp_u_f32 s[52:53], v[vgprValuC+52], v[vgprValuC+52] // check Nan
v_bfe_u32 v6, v[vgprValuC+52], 16, 1               // Non-Nan case: store lsb of bf16
v_add3_u32 v6, v[vgprValuC+52], v6, v9             // Non-Nan case: add lsb and the increment for rounding
v_cndmask_b32 v[vgprValuC+52], v6, v8, s[52:53]    // 
v_lshrrev_b32 v[vgprValuC+52], 16, v[vgprValuC+52] // convert C to bf16
v_cmp_u_f32 s[52:53], v[vgprValuC+53], v[vgprValuC+53] // check Nan
v_bfe_u32 v6, v[vgprValuC+53], 16, 1               // Non-Nan case: store lsb of bf16
v_add3_u32 v6, v[vgprValuC+53], v6, v9             // Non-Nan case: add lsb and the increment for rounding
v_cndmask_b32 v[vgprValuC+53], v6, v8, s[52:53]    // 
v_and_or_b32 v52, v[vgprValuC+53], v7, v[vgprValuC+52] // pack two bf16 to dword
s_lshl_b32  s52, s[sgprStrideD1J], 1               // incToNextRow: Scale by BPE
s_add_u32  s[sgprSrdD+0], s[sgprSrdD+0], s52       // incToNextRow: gra SRD += inc(lower)
s_addc_u32  s[sgprSrdD+1], s[sgprSrdD+1], 0        // incToNextRow: gra SRD += inc(upper)
_buffer_store_b32 v52, v10, s[sgprSrdD:sgprSrdD+3], 0, offen, offset:0,  sc0 sc1 // store D
v_cmp_u_f32 s[52:53], v[vgprValuC+54], v[vgprValuC+54] // check Nan
v_bfe_u32 v6, v[vgprValuC+54], 16, 1               // Non-Nan case: store lsb of bf16
v_add3_u32 v6, v[vgprValuC+54], v6, v9             // Non-Nan case: add lsb and the increment for rounding
v_cndmask_b32 v[vgprValuC+54], v6, v8, s[52:53]    // 
v_lshrrev_b32 v[vgprValuC+54], 16, v[vgprValuC+54] // convert C to bf16
v_cmp_u_f32 s[52:53], v[vgprValuC+55], v[vgprValuC+55] // check Nan
v_bfe_u32 v6, v[vgprValuC+55], 16, 1               // Non-Nan case: store lsb of bf16
v_add3_u32 v6, v[vgprValuC+55], v6, v9             // Non-Nan case: add lsb and the increment for rounding
v_cndmask_b32 v[vgprValuC+55], v6, v8, s[52:53]    // 
v_and_or_b32 v54, v[vgprValuC+55], v7, v[vgprValuC+54] // pack two bf16 to dword
_buffer_store_b32 v54, v10, s[sgprSrdD:sgprSrdD+3], 0, offen, offset:128,  sc0 sc1 // store D
v_cmp_u_f32 s[52:53], v[vgprValuC+56], v[vgprValuC+56] // check Nan
v_bfe_u32 v6, v[vgprValuC+56], 16, 1               // Non-Nan case: store lsb of bf16
v_add3_u32 v6, v[vgprValuC+56], v6, v9             // Non-Nan case: add lsb and the increment for rounding
v_cndmask_b32 v[vgprValuC+56], v6, v8, s[52:53]    // 
v_lshrrev_b32 v[vgprValuC+56], 16, v[vgprValuC+56] // convert C to bf16
v_cmp_u_f32 s[52:53], v[vgprValuC+57], v[vgprValuC+57] // check Nan
v_bfe_u32 v6, v[vgprValuC+57], 16, 1               // Non-Nan case: store lsb of bf16
v_add3_u32 v6, v[vgprValuC+57], v6, v9             // Non-Nan case: add lsb and the increment for rounding
v_cndmask_b32 v[vgprValuC+57], v6, v8, s[52:53]    // 
v_and_or_b32 v56, v[vgprValuC+57], v7, v[vgprValuC+56] // pack two bf16 to dword
_buffer_store_b32 v56, v10, s[sgprSrdD:sgprSrdD+3], 0, offen, offset:256,  sc0 sc1 // store D
v_cmp_u_f32 s[52:53], v[vgprValuC+58], v[vgprValuC+58] // check Nan
v_bfe_u32 v6, v[vgprValuC+58], 16, 1               // Non-Nan case: store lsb of bf16
v_add3_u32 v6, v[vgprValuC+58], v6, v9             // Non-Nan case: add lsb and the increment for rounding
v_cndmask_b32 v[vgprValuC+58], v6, v8, s[52:53]    // 
v_lshrrev_b32 v[vgprValuC+58], 16, v[vgprValuC+58] // convert C to bf16
v_cmp_u_f32 s[52:53], v[vgprValuC+59], v[vgprValuC+59] // check Nan
v_bfe_u32 v6, v[vgprValuC+59], 16, 1               // Non-Nan case: store lsb of bf16
v_add3_u32 v6, v[vgprValuC+59], v6, v9             // Non-Nan case: add lsb and the increment for rounding
v_cndmask_b32 v[vgprValuC+59], v6, v8, s[52:53]    // 
v_and_or_b32 v58, v[vgprValuC+59], v7, v[vgprValuC+58] // pack two bf16 to dword
_buffer_store_b32 v58, v10, s[sgprSrdD:sgprSrdD+3], 0, offen, offset:384,  sc0 sc1 // store D
v_cmp_u_f32 s[52:53], v[vgprValuC+60], v[vgprValuC+60] // check Nan
v_bfe_u32 v6, v[vgprValuC+60], 16, 1               // Non-Nan case: store lsb of bf16
v_add3_u32 v6, v[vgprValuC+60], v6, v9             // Non-Nan case: add lsb and the increment for rounding
v_cndmask_b32 v[vgprValuC+60], v6, v8, s[52:53]    // 
v_lshrrev_b32 v[vgprValuC+60], 16, v[vgprValuC+60] // convert C to bf16
v_cmp_u_f32 s[52:53], v[vgprValuC+61], v[vgprValuC+61] // check Nan
v_bfe_u32 v6, v[vgprValuC+61], 16, 1               // Non-Nan case: store lsb of bf16
v_add3_u32 v6, v[vgprValuC+61], v6, v9             // Non-Nan case: add lsb and the increment for rounding
v_cndmask_b32 v[vgprValuC+61], v6, v8, s[52:53]    // 
v_and_or_b32 v60, v[vgprValuC+61], v7, v[vgprValuC+60] // pack two bf16 to dword
s_lshl_b32  s52, s[sgprStrideD1J], 1               // incToNextRow: Scale by BPE
	;; [unrolled: 47-line block ×3, first 2 shown]
s_add_u32  s[sgprSrdD+0], s[sgprSrdD+0], s52       // incToNextRow: gra SRD += inc(lower)
s_addc_u32  s[sgprSrdD+1], s[sgprSrdD+1], 0        // incToNextRow: gra SRD += inc(upper)
_buffer_store_b32 v68, v10, s[sgprSrdD:sgprSrdD+3], 0, offen, offset:0,  sc0 sc1 // store D
v_cmp_u_f32 s[52:53], v[vgprValuC+70], v[vgprValuC+70] // check Nan
v_bfe_u32 v6, v[vgprValuC+70], 16, 1               // Non-Nan case: store lsb of bf16
v_add3_u32 v6, v[vgprValuC+70], v6, v9             // Non-Nan case: add lsb and the increment for rounding
v_cndmask_b32 v[vgprValuC+70], v6, v8, s[52:53]    // 
v_lshrrev_b32 v[vgprValuC+70], 16, v[vgprValuC+70] // convert C to bf16
v_cmp_u_f32 s[52:53], v[vgprValuC+71], v[vgprValuC+71] // check Nan
v_bfe_u32 v6, v[vgprValuC+71], 16, 1               // Non-Nan case: store lsb of bf16
v_add3_u32 v6, v[vgprValuC+71], v6, v9             // Non-Nan case: add lsb and the increment for rounding
v_cndmask_b32 v[vgprValuC+71], v6, v8, s[52:53]    // 
v_and_or_b32 v70, v[vgprValuC+71], v7, v[vgprValuC+70] // pack two bf16 to dword
_buffer_store_b32 v70, v10, s[sgprSrdD:sgprSrdD+3], 0, offen, offset:128,  sc0 sc1 // store D
v_cmp_u_f32 s[52:53], v[vgprValuC+72], v[vgprValuC+72] // check Nan
v_bfe_u32 v6, v[vgprValuC+72], 16, 1               // Non-Nan case: store lsb of bf16
v_add3_u32 v6, v[vgprValuC+72], v6, v9             // Non-Nan case: add lsb and the increment for rounding
v_cndmask_b32 v[vgprValuC+72], v6, v8, s[52:53]    // 
v_lshrrev_b32 v[vgprValuC+72], 16, v[vgprValuC+72] // convert C to bf16
v_cmp_u_f32 s[52:53], v[vgprValuC+73], v[vgprValuC+73] // check Nan
v_bfe_u32 v6, v[vgprValuC+73], 16, 1               // Non-Nan case: store lsb of bf16
v_add3_u32 v6, v[vgprValuC+73], v6, v9             // Non-Nan case: add lsb and the increment for rounding
v_cndmask_b32 v[vgprValuC+73], v6, v8, s[52:53]    // 
v_and_or_b32 v72, v[vgprValuC+73], v7, v[vgprValuC+72] // pack two bf16 to dword
_buffer_store_b32 v72, v10, s[sgprSrdD:sgprSrdD+3], 0, offen, offset:256,  sc0 sc1 // store D
v_cmp_u_f32 s[52:53], v[vgprValuC+74], v[vgprValuC+74] // check Nan
v_bfe_u32 v6, v[vgprValuC+74], 16, 1               // Non-Nan case: store lsb of bf16
v_add3_u32 v6, v[vgprValuC+74], v6, v9             // Non-Nan case: add lsb and the increment for rounding
v_cndmask_b32 v[vgprValuC+74], v6, v8, s[52:53]    // 
v_lshrrev_b32 v[vgprValuC+74], 16, v[vgprValuC+74] // convert C to bf16
v_cmp_u_f32 s[52:53], v[vgprValuC+75], v[vgprValuC+75] // check Nan
v_bfe_u32 v6, v[vgprValuC+75], 16, 1               // Non-Nan case: store lsb of bf16
v_add3_u32 v6, v[vgprValuC+75], v6, v9             // Non-Nan case: add lsb and the increment for rounding
v_cndmask_b32 v[vgprValuC+75], v6, v8, s[52:53]    // 
v_and_or_b32 v74, v[vgprValuC+75], v7, v[vgprValuC+74] // pack two bf16 to dword
_buffer_store_b32 v74, v10, s[sgprSrdD:sgprSrdD+3], 0, offen, offset:384,  sc0 sc1 // store D
v_cmp_u_f32 s[52:53], v[vgprValuC+76], v[vgprValuC+76] // check Nan
v_bfe_u32 v6, v[vgprValuC+76], 16, 1               // Non-Nan case: store lsb of bf16
v_add3_u32 v6, v[vgprValuC+76], v6, v9             // Non-Nan case: add lsb and the increment for rounding
v_cndmask_b32 v[vgprValuC+76], v6, v8, s[52:53]    // 
v_lshrrev_b32 v[vgprValuC+76], 16, v[vgprValuC+76] // convert C to bf16
v_cmp_u_f32 s[52:53], v[vgprValuC+77], v[vgprValuC+77] // check Nan
v_bfe_u32 v6, v[vgprValuC+77], 16, 1               // Non-Nan case: store lsb of bf16
v_add3_u32 v6, v[vgprValuC+77], v6, v9             // Non-Nan case: add lsb and the increment for rounding
v_cndmask_b32 v[vgprValuC+77], v6, v8, s[52:53]    // 
v_and_or_b32 v76, v[vgprValuC+77], v7, v[vgprValuC+76] // pack two bf16 to dword
s_mul_i32 s52, s[sgprStrideD1J], 58                // scale StrideD *= numRows(29) * bpe
s_add_u32  s[sgprSrdD+0], s[sgprSrdD+0], s52       // incToNextRow: gra SRD += inc(lower)
s_addc_u32  s[sgprSrdD+1], s[sgprSrdD+1], 0        // incToNextRow: gra SRD += inc(upper)
_buffer_store_b32 v76, v10, s[sgprSrdD:sgprSrdD+3], 0, offen, offset:0,  sc0 sc1 // store D
v_cmp_u_f32 s[52:53], v[vgprValuC+78], v[vgprValuC+78] // check Nan
v_bfe_u32 v6, v[vgprValuC+78], 16, 1               // Non-Nan case: store lsb of bf16
v_add3_u32 v6, v[vgprValuC+78], v6, v9             // Non-Nan case: add lsb and the increment for rounding
v_cndmask_b32 v[vgprValuC+78], v6, v8, s[52:53]    // 
v_lshrrev_b32 v[vgprValuC+78], 16, v[vgprValuC+78] // convert C to bf16
v_cmp_u_f32 s[52:53], v[vgprValuC+79], v[vgprValuC+79] // check Nan
v_bfe_u32 v6, v[vgprValuC+79], 16, 1               // Non-Nan case: store lsb of bf16
v_add3_u32 v6, v[vgprValuC+79], v6, v9             // Non-Nan case: add lsb and the increment for rounding
v_cndmask_b32 v[vgprValuC+79], v6, v8, s[52:53]    // 
v_and_or_b32 v78, v[vgprValuC+79], v7, v[vgprValuC+78] // pack two bf16 to dword
_buffer_store_b32 v78, v10, s[sgprSrdD:sgprSrdD+3], 0, offen, offset:128,  sc0 sc1 // store D
v_cmp_u_f32 s[52:53], v[vgprValuC+80], v[vgprValuC+80] // check Nan
v_bfe_u32 v6, v[vgprValuC+80], 16, 1               // Non-Nan case: store lsb of bf16
v_add3_u32 v6, v[vgprValuC+80], v6, v9             // Non-Nan case: add lsb and the increment for rounding
v_cndmask_b32 v[vgprValuC+80], v6, v8, s[52:53]    // 
v_lshrrev_b32 v[vgprValuC+80], 16, v[vgprValuC+80] // convert C to bf16
v_cmp_u_f32 s[52:53], v[vgprValuC+81], v[vgprValuC+81] // check Nan
v_bfe_u32 v6, v[vgprValuC+81], 16, 1               // Non-Nan case: store lsb of bf16
v_add3_u32 v6, v[vgprValuC+81], v6, v9             // Non-Nan case: add lsb and the increment for rounding
v_cndmask_b32 v[vgprValuC+81], v6, v8, s[52:53]    // 
v_and_or_b32 v80, v[vgprValuC+81], v7, v[vgprValuC+80] // pack two bf16 to dword
	;; [unrolled: 11-line block ×4, first 2 shown]
s_lshl_b32  s52, s[sgprStrideD1J], 1               // incToNextRow: Scale by BPE
s_add_u32  s[sgprSrdD+0], s[sgprSrdD+0], s52       // incToNextRow: gra SRD += inc(lower)
s_addc_u32  s[sgprSrdD+1], s[sgprSrdD+1], 0        // incToNextRow: gra SRD += inc(upper)
_buffer_store_b32 v84, v10, s[sgprSrdD:sgprSrdD+3], 0, offen, offset:0,  sc0 sc1 // store D
v_cmp_u_f32 s[52:53], v[vgprValuC+86], v[vgprValuC+86] // check Nan
v_bfe_u32 v6, v[vgprValuC+86], 16, 1               // Non-Nan case: store lsb of bf16
v_add3_u32 v6, v[vgprValuC+86], v6, v9             // Non-Nan case: add lsb and the increment for rounding
v_cndmask_b32 v[vgprValuC+86], v6, v8, s[52:53]    // 
v_lshrrev_b32 v[vgprValuC+86], 16, v[vgprValuC+86] // convert C to bf16
v_cmp_u_f32 s[52:53], v[vgprValuC+87], v[vgprValuC+87] // check Nan
v_bfe_u32 v6, v[vgprValuC+87], 16, 1               // Non-Nan case: store lsb of bf16
v_add3_u32 v6, v[vgprValuC+87], v6, v9             // Non-Nan case: add lsb and the increment for rounding
v_cndmask_b32 v[vgprValuC+87], v6, v8, s[52:53]    // 
v_and_or_b32 v86, v[vgprValuC+87], v7, v[vgprValuC+86] // pack two bf16 to dword
_buffer_store_b32 v86, v10, s[sgprSrdD:sgprSrdD+3], 0, offen, offset:128,  sc0 sc1 // store D
v_cmp_u_f32 s[52:53], v[vgprValuC+88], v[vgprValuC+88] // check Nan
v_bfe_u32 v6, v[vgprValuC+88], 16, 1               // Non-Nan case: store lsb of bf16
v_add3_u32 v6, v[vgprValuC+88], v6, v9             // Non-Nan case: add lsb and the increment for rounding
v_cndmask_b32 v[vgprValuC+88], v6, v8, s[52:53]    // 
v_lshrrev_b32 v[vgprValuC+88], 16, v[vgprValuC+88] // convert C to bf16
v_cmp_u_f32 s[52:53], v[vgprValuC+89], v[vgprValuC+89] // check Nan
v_bfe_u32 v6, v[vgprValuC+89], 16, 1               // Non-Nan case: store lsb of bf16
v_add3_u32 v6, v[vgprValuC+89], v6, v9             // Non-Nan case: add lsb and the increment for rounding
v_cndmask_b32 v[vgprValuC+89], v6, v8, s[52:53]    // 
v_and_or_b32 v88, v[vgprValuC+89], v7, v[vgprValuC+88] // pack two bf16 to dword
	;; [unrolled: 11-line block ×4, first 2 shown]
s_lshl_b32  s52, s[sgprStrideD1J], 1               // incToNextRow: Scale by BPE
s_add_u32  s[sgprSrdD+0], s[sgprSrdD+0], s52       // incToNextRow: gra SRD += inc(lower)
s_addc_u32  s[sgprSrdD+1], s[sgprSrdD+1], 0        // incToNextRow: gra SRD += inc(upper)
_buffer_store_b32 v92, v10, s[sgprSrdD:sgprSrdD+3], 0, offen, offset:0,  sc0 sc1 // store D
v_cmp_u_f32 s[52:53], v[vgprValuC+94], v[vgprValuC+94] // check Nan
v_bfe_u32 v6, v[vgprValuC+94], 16, 1               // Non-Nan case: store lsb of bf16
v_add3_u32 v6, v[vgprValuC+94], v6, v9             // Non-Nan case: add lsb and the increment for rounding
v_cndmask_b32 v[vgprValuC+94], v6, v8, s[52:53]    // 
v_lshrrev_b32 v[vgprValuC+94], 16, v[vgprValuC+94] // convert C to bf16
v_cmp_u_f32 s[52:53], v[vgprValuC+95], v[vgprValuC+95] // check Nan
v_bfe_u32 v6, v[vgprValuC+95], 16, 1               // Non-Nan case: store lsb of bf16
v_add3_u32 v6, v[vgprValuC+95], v6, v9             // Non-Nan case: add lsb and the increment for rounding
v_cndmask_b32 v[vgprValuC+95], v6, v8, s[52:53]    // 
v_and_or_b32 v94, v[vgprValuC+95], v7, v[vgprValuC+94] // pack two bf16 to dword
_buffer_store_b32 v94, v10, s[sgprSrdD:sgprSrdD+3], 0, offen, offset:128,  sc0 sc1 // store D
v_cmp_u_f32 s[52:53], v[vgprValuC+96], v[vgprValuC+96] // check Nan
v_bfe_u32 v6, v[vgprValuC+96], 16, 1               // Non-Nan case: store lsb of bf16
v_add3_u32 v6, v[vgprValuC+96], v6, v9             // Non-Nan case: add lsb and the increment for rounding
v_cndmask_b32 v[vgprValuC+96], v6, v8, s[52:53]    // 
v_lshrrev_b32 v[vgprValuC+96], 16, v[vgprValuC+96] // convert C to bf16
v_cmp_u_f32 s[52:53], v[vgprValuC+97], v[vgprValuC+97] // check Nan
v_bfe_u32 v6, v[vgprValuC+97], 16, 1               // Non-Nan case: store lsb of bf16
v_add3_u32 v6, v[vgprValuC+97], v6, v9             // Non-Nan case: add lsb and the increment for rounding
v_cndmask_b32 v[vgprValuC+97], v6, v8, s[52:53]    // 
v_and_or_b32 v96, v[vgprValuC+97], v7, v[vgprValuC+96] // pack two bf16 to dword
	;; [unrolled: 11-line block ×3, first 2 shown]
_buffer_store_b32 v98, v10, s[sgprSrdD:sgprSrdD+3], 0, offen, offset:384,  sc0 sc1 // store D
v_cmp_u_f32 s[52:53], v[vgprValuC+100], v[vgprValuC+100] // check Nan
v_bfe_u32 v6, v[vgprValuC+100], 16, 1              // Non-Nan case: store lsb of bf16
v_add3_u32 v6, v[vgprValuC+100], v6, v9            // Non-Nan case: add lsb and the increment for rounding
v_cndmask_b32 v[vgprValuC+100], v6, v8, s[52:53]   // 
v_lshrrev_b32 v[vgprValuC+100], 16, v[vgprValuC+100] // convert C to bf16
v_cmp_u_f32 s[52:53], v[vgprValuC+101], v[vgprValuC+101] // check Nan
v_bfe_u32 v6, v[vgprValuC+101], 16, 1              // Non-Nan case: store lsb of bf16
v_add3_u32 v6, v[vgprValuC+101], v6, v9            // Non-Nan case: add lsb and the increment for rounding
v_cndmask_b32 v[vgprValuC+101], v6, v8, s[52:53]   // 
v_and_or_b32 v100, v[vgprValuC+101], v7, v[vgprValuC+100] // pack two bf16 to dword
s_lshl_b32  s52, s[sgprStrideD1J], 1               // incToNextRow: Scale by BPE
s_add_u32  s[sgprSrdD+0], s[sgprSrdD+0], s52       // incToNextRow: gra SRD += inc(lower)
s_addc_u32  s[sgprSrdD+1], s[sgprSrdD+1], 0        // incToNextRow: gra SRD += inc(upper)
_buffer_store_b32 v100, v10, s[sgprSrdD:sgprSrdD+3], 0, offen, offset:0,  sc0 sc1 // store D
v_cmp_u_f32 s[52:53], v[vgprValuC+102], v[vgprValuC+102] // check Nan
v_bfe_u32 v6, v[vgprValuC+102], 16, 1              // Non-Nan case: store lsb of bf16
v_add3_u32 v6, v[vgprValuC+102], v6, v9            // Non-Nan case: add lsb and the increment for rounding
v_cndmask_b32 v[vgprValuC+102], v6, v8, s[52:53]   // 
v_lshrrev_b32 v[vgprValuC+102], 16, v[vgprValuC+102] // convert C to bf16
v_cmp_u_f32 s[52:53], v[vgprValuC+103], v[vgprValuC+103] // check Nan
v_bfe_u32 v6, v[vgprValuC+103], 16, 1              // Non-Nan case: store lsb of bf16
v_add3_u32 v6, v[vgprValuC+103], v6, v9            // Non-Nan case: add lsb and the increment for rounding
v_cndmask_b32 v[vgprValuC+103], v6, v8, s[52:53]   // 
v_and_or_b32 v102, v[vgprValuC+103], v7, v[vgprValuC+102] // pack two bf16 to dword
_buffer_store_b32 v102, v10, s[sgprSrdD:sgprSrdD+3], 0, offen, offset:128,  sc0 sc1 // store D
v_cmp_u_f32 s[52:53], v[vgprValuC+104], v[vgprValuC+104] // check Nan
v_bfe_u32 v6, v[vgprValuC+104], 16, 1              // Non-Nan case: store lsb of bf16
v_add3_u32 v6, v[vgprValuC+104], v6, v9            // Non-Nan case: add lsb and the increment for rounding
v_cndmask_b32 v[vgprValuC+104], v6, v8, s[52:53]   // 
v_lshrrev_b32 v[vgprValuC+104], 16, v[vgprValuC+104] // convert C to bf16
v_cmp_u_f32 s[52:53], v[vgprValuC+105], v[vgprValuC+105] // check Nan
v_bfe_u32 v6, v[vgprValuC+105], 16, 1              // Non-Nan case: store lsb of bf16
v_add3_u32 v6, v[vgprValuC+105], v6, v9            // Non-Nan case: add lsb and the increment for rounding
v_cndmask_b32 v[vgprValuC+105], v6, v8, s[52:53]   // 
v_and_or_b32 v104, v[vgprValuC+105], v7, v[vgprValuC+104] // pack two bf16 to dword
	;; [unrolled: 11-line block ×4, first 2 shown]
s_mul_i32 s52, s[sgprStrideD1J], 58                // scale StrideD *= numRows(29) * bpe
s_add_u32  s[sgprSrdD+0], s[sgprSrdD+0], s52       // incToNextRow: gra SRD += inc(lower)
s_addc_u32  s[sgprSrdD+1], s[sgprSrdD+1], 0        // incToNextRow: gra SRD += inc(upper)
_buffer_store_b32 v108, v10, s[sgprSrdD:sgprSrdD+3], 0, offen, offset:0,  sc0 sc1 // store D
v_cmp_u_f32 s[52:53], v[vgprValuC+110], v[vgprValuC+110] // check Nan
v_bfe_u32 v6, v[vgprValuC+110], 16, 1              // Non-Nan case: store lsb of bf16
v_add3_u32 v6, v[vgprValuC+110], v6, v9            // Non-Nan case: add lsb and the increment for rounding
v_cndmask_b32 v[vgprValuC+110], v6, v8, s[52:53]   // 
v_lshrrev_b32 v[vgprValuC+110], 16, v[vgprValuC+110] // convert C to bf16
v_cmp_u_f32 s[52:53], v[vgprValuC+111], v[vgprValuC+111] // check Nan
v_bfe_u32 v6, v[vgprValuC+111], 16, 1              // Non-Nan case: store lsb of bf16
v_add3_u32 v6, v[vgprValuC+111], v6, v9            // Non-Nan case: add lsb and the increment for rounding
v_cndmask_b32 v[vgprValuC+111], v6, v8, s[52:53]   // 
v_and_or_b32 v110, v[vgprValuC+111], v7, v[vgprValuC+110] // pack two bf16 to dword
_buffer_store_b32 v110, v10, s[sgprSrdD:sgprSrdD+3], 0, offen, offset:128,  sc0 sc1 // store D
v_cmp_u_f32 s[52:53], v[vgprValuC+112], v[vgprValuC+112] // check Nan
v_bfe_u32 v6, v[vgprValuC+112], 16, 1              // Non-Nan case: store lsb of bf16
v_add3_u32 v6, v[vgprValuC+112], v6, v9            // Non-Nan case: add lsb and the increment for rounding
v_cndmask_b32 v[vgprValuC+112], v6, v8, s[52:53]   // 
v_lshrrev_b32 v[vgprValuC+112], 16, v[vgprValuC+112] // convert C to bf16
v_cmp_u_f32 s[52:53], v[vgprValuC+113], v[vgprValuC+113] // check Nan
v_bfe_u32 v6, v[vgprValuC+113], 16, 1              // Non-Nan case: store lsb of bf16
v_add3_u32 v6, v[vgprValuC+113], v6, v9            // Non-Nan case: add lsb and the increment for rounding
v_cndmask_b32 v[vgprValuC+113], v6, v8, s[52:53]   // 
v_and_or_b32 v112, v[vgprValuC+113], v7, v[vgprValuC+112] // pack two bf16 to dword
_buffer_store_b32 v112, v10, s[sgprSrdD:sgprSrdD+3], 0, offen, offset:256,  sc0 sc1 // store D
v_cmp_u_f32 s[52:53], v[vgprValuC+114], v[vgprValuC+114] // check Nan
v_bfe_u32 v6, v[vgprValuC+114], 16, 1              // Non-Nan case: store lsb of bf16
v_add3_u32 v6, v[vgprValuC+114], v6, v9            // Non-Nan case: add lsb and the increment for rounding
v_cndmask_b32 v[vgprValuC+114], v6, v8, s[52:53]   // 
v_lshrrev_b32 v[vgprValuC+114], 16, v[vgprValuC+114] // convert C to bf16
v_cmp_u_f32 s[52:53], v[vgprValuC+115], v[vgprValuC+115] // check Nan
v_bfe_u32 v6, v[vgprValuC+115], 16, 1              // Non-Nan case: store lsb of bf16
v_add3_u32 v6, v[vgprValuC+115], v6, v9            // Non-Nan case: add lsb and the increment for rounding
v_cndmask_b32 v[vgprValuC+115], v6, v8, s[52:53]   // 
v_and_or_b32 v114, v[vgprValuC+115], v7, v[vgprValuC+114] // pack two bf16 to dword
_buffer_store_b32 v114, v10, s[sgprSrdD:sgprSrdD+3], 0, offen, offset:384,  sc0 sc1 // store D
v_cmp_u_f32 s[52:53], v[vgprValuC+116], v[vgprValuC+116] // check Nan
v_bfe_u32 v6, v[vgprValuC+116], 16, 1              // Non-Nan case: store lsb of bf16
v_add3_u32 v6, v[vgprValuC+116], v6, v9            // Non-Nan case: add lsb and the increment for rounding
v_cndmask_b32 v[vgprValuC+116], v6, v8, s[52:53]   // 
v_lshrrev_b32 v[vgprValuC+116], 16, v[vgprValuC+116] // convert C to bf16
v_cmp_u_f32 s[52:53], v[vgprValuC+117], v[vgprValuC+117] // check Nan
v_bfe_u32 v6, v[vgprValuC+117], 16, 1              // Non-Nan case: store lsb of bf16
v_add3_u32 v6, v[vgprValuC+117], v6, v9            // Non-Nan case: add lsb and the increment for rounding
v_cndmask_b32 v[vgprValuC+117], v6, v8, s[52:53]   // 
v_and_or_b32 v116, v[vgprValuC+117], v7, v[vgprValuC+116] // pack two bf16 to dword
s_lshl_b32  s52, s[sgprStrideD1J], 1               // incToNextRow: Scale by BPE
s_add_u32  s[sgprSrdD+0], s[sgprSrdD+0], s52       // incToNextRow: gra SRD += inc(lower)
s_addc_u32  s[sgprSrdD+1], s[sgprSrdD+1], 0        // incToNextRow: gra SRD += inc(upper)
_buffer_store_b32 v116, v10, s[sgprSrdD:sgprSrdD+3], 0, offen, offset:0,  sc0 sc1 // store D
v_cmp_u_f32 s[52:53], v[vgprValuC+118], v[vgprValuC+118] // check Nan
v_bfe_u32 v6, v[vgprValuC+118], 16, 1              // Non-Nan case: store lsb of bf16
v_add3_u32 v6, v[vgprValuC+118], v6, v9            // Non-Nan case: add lsb and the increment for rounding
v_cndmask_b32 v[vgprValuC+118], v6, v8, s[52:53]   // 
v_lshrrev_b32 v[vgprValuC+118], 16, v[vgprValuC+118] // convert C to bf16
v_cmp_u_f32 s[52:53], v[vgprValuC+119], v[vgprValuC+119] // check Nan
v_bfe_u32 v6, v[vgprValuC+119], 16, 1              // Non-Nan case: store lsb of bf16
v_add3_u32 v6, v[vgprValuC+119], v6, v9            // Non-Nan case: add lsb and the increment for rounding
v_cndmask_b32 v[vgprValuC+119], v6, v8, s[52:53]   // 
v_and_or_b32 v118, v[vgprValuC+119], v7, v[vgprValuC+118] // pack two bf16 to dword
_buffer_store_b32 v118, v10, s[sgprSrdD:sgprSrdD+3], 0, offen, offset:128,  sc0 sc1 // store D
v_cmp_u_f32 s[52:53], v[vgprValuC+120], v[vgprValuC+120] // check Nan
v_bfe_u32 v6, v[vgprValuC+120], 16, 1              // Non-Nan case: store lsb of bf16
v_add3_u32 v6, v[vgprValuC+120], v6, v9            // Non-Nan case: add lsb and the increment for rounding
v_cndmask_b32 v[vgprValuC+120], v6, v8, s[52:53]   // 
v_lshrrev_b32 v[vgprValuC+120], 16, v[vgprValuC+120] // convert C to bf16
v_cmp_u_f32 s[52:53], v[vgprValuC+121], v[vgprValuC+121] // check Nan
v_bfe_u32 v6, v[vgprValuC+121], 16, 1              // Non-Nan case: store lsb of bf16
v_add3_u32 v6, v[vgprValuC+121], v6, v9            // Non-Nan case: add lsb and the increment for rounding
v_cndmask_b32 v[vgprValuC+121], v6, v8, s[52:53]   // 
v_and_or_b32 v120, v[vgprValuC+121], v7, v[vgprValuC+120] // pack two bf16 to dword
_buffer_store_b32 v120, v10, s[sgprSrdD:sgprSrdD+3], 0, offen, offset:256,  sc0 sc1 // store D
v_cmp_u_f32 s[52:53], v[vgprValuC+122], v[vgprValuC+122] // check Nan
v_bfe_u32 v6, v[vgprValuC+122], 16, 1              // Non-Nan case: store lsb of bf16
v_add3_u32 v6, v[vgprValuC+122], v6, v9            // Non-Nan case: add lsb and the increment for rounding
v_cndmask_b32 v[vgprValuC+122], v6, v8, s[52:53]   // 
v_lshrrev_b32 v[vgprValuC+122], 16, v[vgprValuC+122] // convert C to bf16
v_cmp_u_f32 s[52:53], v[vgprValuC+123], v[vgprValuC+123] // check Nan
v_bfe_u32 v6, v[vgprValuC+123], 16, 1              // Non-Nan case: store lsb of bf16
v_add3_u32 v6, v[vgprValuC+123], v6, v9            // Non-Nan case: add lsb and the increment for rounding
v_cndmask_b32 v[vgprValuC+123], v6, v8, s[52:53]   // 
v_and_or_b32 v122, v[vgprValuC+123], v7, v[vgprValuC+122] // pack two bf16 to dword
_buffer_store_b32 v122, v10, s[sgprSrdD:sgprSrdD+3], 0, offen, offset:384,  sc0 sc1 // store D
v_cmp_u_f32 s[52:53], v[vgprValuC+124], v[vgprValuC+124] // check Nan
v_bfe_u32 v6, v[vgprValuC+124], 16, 1              // Non-Nan case: store lsb of bf16
v_add3_u32 v6, v[vgprValuC+124], v6, v9            // Non-Nan case: add lsb and the increment for rounding
v_cndmask_b32 v[vgprValuC+124], v6, v8, s[52:53]   // 
v_lshrrev_b32 v[vgprValuC+124], 16, v[vgprValuC+124] // convert C to bf16
v_cmp_u_f32 s[52:53], v[vgprValuC+125], v[vgprValuC+125] // check Nan
v_bfe_u32 v6, v[vgprValuC+125], 16, 1              // Non-Nan case: store lsb of bf16
v_add3_u32 v6, v[vgprValuC+125], v6, v9            // Non-Nan case: add lsb and the increment for rounding
v_cndmask_b32 v[vgprValuC+125], v6, v8, s[52:53]   // 
v_and_or_b32 v124, v[vgprValuC+125], v7, v[vgprValuC+124] // pack two bf16 to dword
s_lshl_b32  s52, s[sgprStrideD1J], 1               // incToNextRow: Scale by BPE
s_add_u32  s[sgprSrdD+0], s[sgprSrdD+0], s52       // incToNextRow: gra SRD += inc(lower)
s_addc_u32  s[sgprSrdD+1], s[sgprSrdD+1], 0        // incToNextRow: gra SRD += inc(upper)
_buffer_store_b32 v124, v10, s[sgprSrdD:sgprSrdD+3], 0, offen, offset:0,  sc0 sc1 // store D
v_cmp_u_f32 s[52:53], v[vgprValuC+126], v[vgprValuC+126] // check Nan
v_bfe_u32 v6, v[vgprValuC+126], 16, 1              // Non-Nan case: store lsb of bf16
v_add3_u32 v6, v[vgprValuC+126], v6, v9            // Non-Nan case: add lsb and the increment for rounding
v_cndmask_b32 v[vgprValuC+126], v6, v8, s[52:53]   // 
v_lshrrev_b32 v[vgprValuC+126], 16, v[vgprValuC+126] // convert C to bf16
v_cmp_u_f32 s[52:53], v[vgprValuC+127], v[vgprValuC+127] // check Nan
v_bfe_u32 v6, v[vgprValuC+127], 16, 1              // Non-Nan case: store lsb of bf16
v_add3_u32 v6, v[vgprValuC+127], v6, v9            // Non-Nan case: add lsb and the increment for rounding
v_cndmask_b32 v[vgprValuC+127], v6, v8, s[52:53]   // 
v_and_or_b32 v126, v[vgprValuC+127], v7, v[vgprValuC+126] // pack two bf16 to dword
_buffer_store_b32 v126, v10, s[sgprSrdD:sgprSrdD+3], 0, offen, offset:128,  sc0 sc1 // store D
v_cmp_u_f32 s[52:53], v[vgprValuC+128], v[vgprValuC+128] // check Nan
v_bfe_u32 v6, v[vgprValuC+128], 16, 1              // Non-Nan case: store lsb of bf16
v_add3_u32 v6, v[vgprValuC+128], v6, v9            // Non-Nan case: add lsb and the increment for rounding
v_cndmask_b32 v[vgprValuC+128], v6, v8, s[52:53]   // 
v_lshrrev_b32 v[vgprValuC+128], 16, v[vgprValuC+128] // convert C to bf16
v_cmp_u_f32 s[52:53], v[vgprValuC+129], v[vgprValuC+129] // check Nan
v_bfe_u32 v6, v[vgprValuC+129], 16, 1              // Non-Nan case: store lsb of bf16
v_add3_u32 v6, v[vgprValuC+129], v6, v9            // Non-Nan case: add lsb and the increment for rounding
v_cndmask_b32 v[vgprValuC+129], v6, v8, s[52:53]   // 
v_and_or_b32 v128, v[vgprValuC+129], v7, v[vgprValuC+128] // pack two bf16 to dword
_buffer_store_b32 v128, v10, s[sgprSrdD:sgprSrdD+3], 0, offen, offset:256,  sc0 sc1 // store D
v_cmp_u_f32 s[52:53], v[vgprValuC+130], v[vgprValuC+130] // check Nan
v_bfe_u32 v6, v[vgprValuC+130], 16, 1              // Non-Nan case: store lsb of bf16
v_add3_u32 v6, v[vgprValuC+130], v6, v9            // Non-Nan case: add lsb and the increment for rounding
v_cndmask_b32 v[vgprValuC+130], v6, v8, s[52:53]   // 
v_lshrrev_b32 v[vgprValuC+130], 16, v[vgprValuC+130] // convert C to bf16
v_cmp_u_f32 s[52:53], v[vgprValuC+131], v[vgprValuC+131] // check Nan
v_bfe_u32 v6, v[vgprValuC+131], 16, 1              // Non-Nan case: store lsb of bf16
v_add3_u32 v6, v[vgprValuC+131], v6, v9            // Non-Nan case: add lsb and the increment for rounding
v_cndmask_b32 v[vgprValuC+131], v6, v8, s[52:53]   // 
v_and_or_b32 v130, v[vgprValuC+131], v7, v[vgprValuC+130] // pack two bf16 to dword
_buffer_store_b32 v130, v10, s[sgprSrdD:sgprSrdD+3], 0, offen, offset:384,  sc0 sc1 // store D
v_cmp_u_f32 s[52:53], v[vgprValuC+132], v[vgprValuC+132] // check Nan
v_bfe_u32 v6, v[vgprValuC+132], 16, 1              // Non-Nan case: store lsb of bf16
v_add3_u32 v6, v[vgprValuC+132], v6, v9            // Non-Nan case: add lsb and the increment for rounding
v_cndmask_b32 v[vgprValuC+132], v6, v8, s[52:53]   // 
v_lshrrev_b32 v[vgprValuC+132], 16, v[vgprValuC+132] // convert C to bf16
v_cmp_u_f32 s[52:53], v[vgprValuC+133], v[vgprValuC+133] // check Nan
v_bfe_u32 v6, v[vgprValuC+133], 16, 1              // Non-Nan case: store lsb of bf16
v_add3_u32 v6, v[vgprValuC+133], v6, v9            // Non-Nan case: add lsb and the increment for rounding
v_cndmask_b32 v[vgprValuC+133], v6, v8, s[52:53]   // 
v_and_or_b32 v132, v[vgprValuC+133], v7, v[vgprValuC+132] // pack two bf16 to dword
s_lshl_b32  s52, s[sgprStrideD1J], 1               // incToNextRow: Scale by BPE
s_add_u32  s[sgprSrdD+0], s[sgprSrdD+0], s52       // incToNextRow: gra SRD += inc(lower)
s_addc_u32  s[sgprSrdD+1], s[sgprSrdD+1], 0        // incToNextRow: gra SRD += inc(upper)
_buffer_store_b32 v132, v10, s[sgprSrdD:sgprSrdD+3], 0, offen, offset:0,  sc0 sc1 // store D
v_cmp_u_f32 s[52:53], v[vgprValuC+134], v[vgprValuC+134] // check Nan
v_bfe_u32 v6, v[vgprValuC+134], 16, 1              // Non-Nan case: store lsb of bf16
v_add3_u32 v6, v[vgprValuC+134], v6, v9            // Non-Nan case: add lsb and the increment for rounding
v_cndmask_b32 v[vgprValuC+134], v6, v8, s[52:53]   // 
v_lshrrev_b32 v[vgprValuC+134], 16, v[vgprValuC+134] // convert C to bf16
v_cmp_u_f32 s[52:53], v[vgprValuC+135], v[vgprValuC+135] // check Nan
v_bfe_u32 v6, v[vgprValuC+135], 16, 1              // Non-Nan case: store lsb of bf16
v_add3_u32 v6, v[vgprValuC+135], v6, v9            // Non-Nan case: add lsb and the increment for rounding
v_cndmask_b32 v[vgprValuC+135], v6, v8, s[52:53]   // 
v_and_or_b32 v134, v[vgprValuC+135], v7, v[vgprValuC+134] // pack two bf16 to dword
_buffer_store_b32 v134, v10, s[sgprSrdD:sgprSrdD+3], 0, offen, offset:128,  sc0 sc1 // store D
v_cmp_u_f32 s[52:53], v[vgprValuC+136], v[vgprValuC+136] // check Nan
v_bfe_u32 v6, v[vgprValuC+136], 16, 1              // Non-Nan case: store lsb of bf16
v_add3_u32 v6, v[vgprValuC+136], v6, v9            // Non-Nan case: add lsb and the increment for rounding
v_cndmask_b32 v[vgprValuC+136], v6, v8, s[52:53]   // 
v_lshrrev_b32 v[vgprValuC+136], 16, v[vgprValuC+136] // convert C to bf16
v_cmp_u_f32 s[52:53], v[vgprValuC+137], v[vgprValuC+137] // check Nan
v_bfe_u32 v6, v[vgprValuC+137], 16, 1              // Non-Nan case: store lsb of bf16
v_add3_u32 v6, v[vgprValuC+137], v6, v9            // Non-Nan case: add lsb and the increment for rounding
v_cndmask_b32 v[vgprValuC+137], v6, v8, s[52:53]   // 
v_and_or_b32 v136, v[vgprValuC+137], v7, v[vgprValuC+136] // pack two bf16 to dword
	;; [unrolled: 11-line block ×4, first 2 shown]
s_mul_i32 s52, s[sgprStrideD1J], 58                // scale StrideD *= numRows(29) * bpe
s_add_u32  s[sgprSrdD+0], s[sgprSrdD+0], s52       // incToNextRow: gra SRD += inc(lower)
s_addc_u32  s[sgprSrdD+1], s[sgprSrdD+1], 0        // incToNextRow: gra SRD += inc(upper)
_buffer_store_b32 v140, v10, s[sgprSrdD:sgprSrdD+3], 0, offen, offset:0,  sc0 sc1 // store D
v_cmp_u_f32 s[52:53], v[vgprValuC+142], v[vgprValuC+142] // check Nan
v_bfe_u32 v6, v[vgprValuC+142], 16, 1              // Non-Nan case: store lsb of bf16
v_add3_u32 v6, v[vgprValuC+142], v6, v9            // Non-Nan case: add lsb and the increment for rounding
v_cndmask_b32 v[vgprValuC+142], v6, v8, s[52:53]   // 
v_lshrrev_b32 v[vgprValuC+142], 16, v[vgprValuC+142] // convert C to bf16
v_cmp_u_f32 s[52:53], v[vgprValuC+143], v[vgprValuC+143] // check Nan
v_bfe_u32 v6, v[vgprValuC+143], 16, 1              // Non-Nan case: store lsb of bf16
v_add3_u32 v6, v[vgprValuC+143], v6, v9            // Non-Nan case: add lsb and the increment for rounding
v_cndmask_b32 v[vgprValuC+143], v6, v8, s[52:53]   // 
v_and_or_b32 v142, v[vgprValuC+143], v7, v[vgprValuC+142] // pack two bf16 to dword
_buffer_store_b32 v142, v10, s[sgprSrdD:sgprSrdD+3], 0, offen, offset:128,  sc0 sc1 // store D
v_cmp_u_f32 s[52:53], v[vgprValuC+144], v[vgprValuC+144] // check Nan
v_bfe_u32 v6, v[vgprValuC+144], 16, 1              // Non-Nan case: store lsb of bf16
v_add3_u32 v6, v[vgprValuC+144], v6, v9            // Non-Nan case: add lsb and the increment for rounding
v_cndmask_b32 v[vgprValuC+144], v6, v8, s[52:53]   // 
v_lshrrev_b32 v[vgprValuC+144], 16, v[vgprValuC+144] // convert C to bf16
v_cmp_u_f32 s[52:53], v[vgprValuC+145], v[vgprValuC+145] // check Nan
v_bfe_u32 v6, v[vgprValuC+145], 16, 1              // Non-Nan case: store lsb of bf16
v_add3_u32 v6, v[vgprValuC+145], v6, v9            // Non-Nan case: add lsb and the increment for rounding
v_cndmask_b32 v[vgprValuC+145], v6, v8, s[52:53]   // 
v_and_or_b32 v144, v[vgprValuC+145], v7, v[vgprValuC+144] // pack two bf16 to dword
_buffer_store_b32 v144, v10, s[sgprSrdD:sgprSrdD+3], 0, offen, offset:256,  sc0 sc1 // store D
v_cmp_u_f32 s[52:53], v[vgprValuC+146], v[vgprValuC+146] // check Nan
v_bfe_u32 v6, v[vgprValuC+146], 16, 1              // Non-Nan case: store lsb of bf16
v_add3_u32 v6, v[vgprValuC+146], v6, v9            // Non-Nan case: add lsb and the increment for rounding
v_cndmask_b32 v[vgprValuC+146], v6, v8, s[52:53]   // 
v_lshrrev_b32 v[vgprValuC+146], 16, v[vgprValuC+146] // convert C to bf16
v_cmp_u_f32 s[52:53], v[vgprValuC+147], v[vgprValuC+147] // check Nan
v_bfe_u32 v6, v[vgprValuC+147], 16, 1              // Non-Nan case: store lsb of bf16
v_add3_u32 v6, v[vgprValuC+147], v6, v9            // Non-Nan case: add lsb and the increment for rounding
v_cndmask_b32 v[vgprValuC+147], v6, v8, s[52:53]   // 
v_and_or_b32 v146, v[vgprValuC+147], v7, v[vgprValuC+146] // pack two bf16 to dword
_buffer_store_b32 v146, v10, s[sgprSrdD:sgprSrdD+3], 0, offen, offset:384,  sc0 sc1 // store D
v_cmp_u_f32 s[52:53], v[vgprValuC+152], v[vgprValuC+152] // check Nan
v_bfe_u32 v6, v[vgprValuC+152], 16, 1              // Non-Nan case: store lsb of bf16
v_add3_u32 v6, v[vgprValuC+152], v6, v9            // Non-Nan case: add lsb and the increment for rounding
v_cndmask_b32 v[vgprValuC+152], v6, v8, s[52:53]   // 
v_lshrrev_b32 v[vgprValuC+152], 16, v[vgprValuC+152] // convert C to bf16
v_cmp_u_f32 s[52:53], v[vgprValuC+153], v[vgprValuC+153] // check Nan
v_bfe_u32 v6, v[vgprValuC+153], 16, 1              // Non-Nan case: store lsb of bf16
v_add3_u32 v6, v[vgprValuC+153], v6, v9            // Non-Nan case: add lsb and the increment for rounding
v_cndmask_b32 v[vgprValuC+153], v6, v8, s[52:53]   // 
v_and_or_b32 v152, v[vgprValuC+153], v7, v[vgprValuC+152] // pack two bf16 to dword
s_lshl_b32  s52, s[sgprStrideD1J], 1               // incToNextRow: Scale by BPE
s_add_u32  s[sgprSrdD+0], s[sgprSrdD+0], s52       // incToNextRow: gra SRD += inc(lower)
s_addc_u32  s[sgprSrdD+1], s[sgprSrdD+1], 0        // incToNextRow: gra SRD += inc(upper)
_buffer_store_b32 v152, v10, s[sgprSrdD:sgprSrdD+3], 0, offen, offset:0,  sc0 sc1 // store D
v_cmp_u_f32 s[52:53], v[vgprValuC+154], v[vgprValuC+154] // check Nan
v_bfe_u32 v6, v[vgprValuC+154], 16, 1              // Non-Nan case: store lsb of bf16
v_add3_u32 v6, v[vgprValuC+154], v6, v9            // Non-Nan case: add lsb and the increment for rounding
v_cndmask_b32 v[vgprValuC+154], v6, v8, s[52:53]   // 
v_lshrrev_b32 v[vgprValuC+154], 16, v[vgprValuC+154] // convert C to bf16
v_cmp_u_f32 s[52:53], v[vgprValuC+155], v[vgprValuC+155] // check Nan
v_bfe_u32 v6, v[vgprValuC+155], 16, 1              // Non-Nan case: store lsb of bf16
v_add3_u32 v6, v[vgprValuC+155], v6, v9            // Non-Nan case: add lsb and the increment for rounding
v_cndmask_b32 v[vgprValuC+155], v6, v8, s[52:53]   // 
v_and_or_b32 v154, v[vgprValuC+155], v7, v[vgprValuC+154] // pack two bf16 to dword
_buffer_store_b32 v154, v10, s[sgprSrdD:sgprSrdD+3], 0, offen, offset:128,  sc0 sc1 // store D
v_cmp_u_f32 s[52:53], v[vgprValuC+156], v[vgprValuC+156] // check Nan
v_bfe_u32 v6, v[vgprValuC+156], 16, 1              // Non-Nan case: store lsb of bf16
v_add3_u32 v6, v[vgprValuC+156], v6, v9            // Non-Nan case: add lsb and the increment for rounding
v_cndmask_b32 v[vgprValuC+156], v6, v8, s[52:53]   // 
v_lshrrev_b32 v[vgprValuC+156], 16, v[vgprValuC+156] // convert C to bf16
v_cmp_u_f32 s[52:53], v[vgprValuC+157], v[vgprValuC+157] // check Nan
v_bfe_u32 v6, v[vgprValuC+157], 16, 1              // Non-Nan case: store lsb of bf16
v_add3_u32 v6, v[vgprValuC+157], v6, v9            // Non-Nan case: add lsb and the increment for rounding
v_cndmask_b32 v[vgprValuC+157], v6, v8, s[52:53]   // 
v_and_or_b32 v156, v[vgprValuC+157], v7, v[vgprValuC+156] // pack two bf16 to dword
_buffer_store_b32 v156, v10, s[sgprSrdD:sgprSrdD+3], 0, offen, offset:256,  sc0 sc1 // store D
v_cmp_u_f32 s[52:53], v[vgprValuC+158], v[vgprValuC+158] // check Nan
v_bfe_u32 v6, v[vgprValuC+158], 16, 1              // Non-Nan case: store lsb of bf16
v_add3_u32 v6, v[vgprValuC+158], v6, v9            // Non-Nan case: add lsb and the increment for rounding
v_cndmask_b32 v[vgprValuC+158], v6, v8, s[52:53]   // 
v_lshrrev_b32 v[vgprValuC+158], 16, v[vgprValuC+158] // convert C to bf16
v_cmp_u_f32 s[52:53], v[vgprValuC+159], v[vgprValuC+159] // check Nan
v_bfe_u32 v6, v[vgprValuC+159], 16, 1              // Non-Nan case: store lsb of bf16
v_add3_u32 v6, v[vgprValuC+159], v6, v9            // Non-Nan case: add lsb and the increment for rounding
v_cndmask_b32 v[vgprValuC+159], v6, v8, s[52:53]   // 
v_and_or_b32 v158, v[vgprValuC+159], v7, v[vgprValuC+158] // pack two bf16 to dword
_buffer_store_b32 v158, v10, s[sgprSrdD:sgprSrdD+3], 0, offen, offset:384,  sc0 sc1 // store D
v_cmp_u_f32 s[52:53], v[vgprValuC+160], v[vgprValuC+160] // check Nan
v_bfe_u32 v6, v[vgprValuC+160], 16, 1              // Non-Nan case: store lsb of bf16
v_add3_u32 v6, v[vgprValuC+160], v6, v9            // Non-Nan case: add lsb and the increment for rounding
v_cndmask_b32 v[vgprValuC+160], v6, v8, s[52:53]   // 
v_lshrrev_b32 v[vgprValuC+160], 16, v[vgprValuC+160] // convert C to bf16
v_cmp_u_f32 s[52:53], v[vgprValuC+161], v[vgprValuC+161] // check Nan
v_bfe_u32 v6, v[vgprValuC+161], 16, 1              // Non-Nan case: store lsb of bf16
v_add3_u32 v6, v[vgprValuC+161], v6, v9            // Non-Nan case: add lsb and the increment for rounding
v_cndmask_b32 v[vgprValuC+161], v6, v8, s[52:53]   // 
v_and_or_b32 v160, v[vgprValuC+161], v7, v[vgprValuC+160] // pack two bf16 to dword
s_lshl_b32  s52, s[sgprStrideD1J], 1               // incToNextRow: Scale by BPE
	;; [unrolled: 47-line block ×3, first 2 shown]
s_add_u32  s[sgprSrdD+0], s[sgprSrdD+0], s52       // incToNextRow: gra SRD += inc(lower)
s_addc_u32  s[sgprSrdD+1], s[sgprSrdD+1], 0        // incToNextRow: gra SRD += inc(upper)
_buffer_store_b32 v168, v10, s[sgprSrdD:sgprSrdD+3], 0, offen, offset:0,  sc0 sc1 // store D
v_cmp_u_f32 s[52:53], v[vgprValuC+170], v[vgprValuC+170] // check Nan
v_bfe_u32 v6, v[vgprValuC+170], 16, 1              // Non-Nan case: store lsb of bf16
v_add3_u32 v6, v[vgprValuC+170], v6, v9            // Non-Nan case: add lsb and the increment for rounding
v_cndmask_b32 v[vgprValuC+170], v6, v8, s[52:53]   // 
v_lshrrev_b32 v[vgprValuC+170], 16, v[vgprValuC+170] // convert C to bf16
v_cmp_u_f32 s[52:53], v[vgprValuC+171], v[vgprValuC+171] // check Nan
v_bfe_u32 v6, v[vgprValuC+171], 16, 1              // Non-Nan case: store lsb of bf16
v_add3_u32 v6, v[vgprValuC+171], v6, v9            // Non-Nan case: add lsb and the increment for rounding
v_cndmask_b32 v[vgprValuC+171], v6, v8, s[52:53]   // 
v_and_or_b32 v170, v[vgprValuC+171], v7, v[vgprValuC+170] // pack two bf16 to dword
_buffer_store_b32 v170, v10, s[sgprSrdD:sgprSrdD+3], 0, offen, offset:128,  sc0 sc1 // store D
v_cmp_u_f32 s[52:53], v[vgprValuC+172], v[vgprValuC+172] // check Nan
v_bfe_u32 v6, v[vgprValuC+172], 16, 1              // Non-Nan case: store lsb of bf16
v_add3_u32 v6, v[vgprValuC+172], v6, v9            // Non-Nan case: add lsb and the increment for rounding
v_cndmask_b32 v[vgprValuC+172], v6, v8, s[52:53]   // 
v_lshrrev_b32 v[vgprValuC+172], 16, v[vgprValuC+172] // convert C to bf16
v_cmp_u_f32 s[52:53], v[vgprValuC+173], v[vgprValuC+173] // check Nan
v_bfe_u32 v6, v[vgprValuC+173], 16, 1              // Non-Nan case: store lsb of bf16
v_add3_u32 v6, v[vgprValuC+173], v6, v9            // Non-Nan case: add lsb and the increment for rounding
v_cndmask_b32 v[vgprValuC+173], v6, v8, s[52:53]   // 
v_and_or_b32 v172, v[vgprValuC+173], v7, v[vgprValuC+172] // pack two bf16 to dword
	;; [unrolled: 11-line block ×4, first 2 shown]
s_mul_i32 s52, s[sgprStrideD1J], 58                // scale StrideD *= numRows(29) * bpe
s_add_u32  s[sgprSrdD+0], s[sgprSrdD+0], s52       // incToNextRow: gra SRD += inc(lower)
s_addc_u32  s[sgprSrdD+1], s[sgprSrdD+1], 0        // incToNextRow: gra SRD += inc(upper)
_buffer_store_b32 v176, v10, s[sgprSrdD:sgprSrdD+3], 0, offen, offset:0,  sc0 sc1 // store D
v_cmp_u_f32 s[52:53], v[vgprValuC+178], v[vgprValuC+178] // check Nan
v_bfe_u32 v6, v[vgprValuC+178], 16, 1              // Non-Nan case: store lsb of bf16
v_add3_u32 v6, v[vgprValuC+178], v6, v9            // Non-Nan case: add lsb and the increment for rounding
v_cndmask_b32 v[vgprValuC+178], v6, v8, s[52:53]   // 
v_lshrrev_b32 v[vgprValuC+178], 16, v[vgprValuC+178] // convert C to bf16
v_cmp_u_f32 s[52:53], v[vgprValuC+179], v[vgprValuC+179] // check Nan
v_bfe_u32 v6, v[vgprValuC+179], 16, 1              // Non-Nan case: store lsb of bf16
v_add3_u32 v6, v[vgprValuC+179], v6, v9            // Non-Nan case: add lsb and the increment for rounding
v_cndmask_b32 v[vgprValuC+179], v6, v8, s[52:53]   // 
v_and_or_b32 v178, v[vgprValuC+179], v7, v[vgprValuC+178] // pack two bf16 to dword
_buffer_store_b32 v178, v10, s[sgprSrdD:sgprSrdD+3], 0, offen, offset:128,  sc0 sc1 // store D
v_cmp_u_f32 s[52:53], v[vgprValuC+180], v[vgprValuC+180] // check Nan
v_bfe_u32 v6, v[vgprValuC+180], 16, 1              // Non-Nan case: store lsb of bf16
v_add3_u32 v6, v[vgprValuC+180], v6, v9            // Non-Nan case: add lsb and the increment for rounding
v_cndmask_b32 v[vgprValuC+180], v6, v8, s[52:53]   // 
v_lshrrev_b32 v[vgprValuC+180], 16, v[vgprValuC+180] // convert C to bf16
v_cmp_u_f32 s[52:53], v[vgprValuC+181], v[vgprValuC+181] // check Nan
v_bfe_u32 v6, v[vgprValuC+181], 16, 1              // Non-Nan case: store lsb of bf16
v_add3_u32 v6, v[vgprValuC+181], v6, v9            // Non-Nan case: add lsb and the increment for rounding
v_cndmask_b32 v[vgprValuC+181], v6, v8, s[52:53]   // 
v_and_or_b32 v180, v[vgprValuC+181], v7, v[vgprValuC+180] // pack two bf16 to dword
_buffer_store_b32 v180, v10, s[sgprSrdD:sgprSrdD+3], 0, offen, offset:256,  sc0 sc1 // store D
v_cmp_u_f32 s[52:53], v[vgprValuC+182], v[vgprValuC+182] // check Nan
v_bfe_u32 v6, v[vgprValuC+182], 16, 1              // Non-Nan case: store lsb of bf16
v_add3_u32 v6, v[vgprValuC+182], v6, v9            // Non-Nan case: add lsb and the increment for rounding
v_cndmask_b32 v[vgprValuC+182], v6, v8, s[52:53]   // 
v_lshrrev_b32 v[vgprValuC+182], 16, v[vgprValuC+182] // convert C to bf16
v_cmp_u_f32 s[52:53], v[vgprValuC+183], v[vgprValuC+183] // check Nan
v_bfe_u32 v6, v[vgprValuC+183], 16, 1              // Non-Nan case: store lsb of bf16
v_add3_u32 v6, v[vgprValuC+183], v6, v9            // Non-Nan case: add lsb and the increment for rounding
v_cndmask_b32 v[vgprValuC+183], v6, v8, s[52:53]   // 
v_and_or_b32 v182, v[vgprValuC+183], v7, v[vgprValuC+182] // pack two bf16 to dword
_buffer_store_b32 v182, v10, s[sgprSrdD:sgprSrdD+3], 0, offen, offset:384,  sc0 sc1 // store D
v_cmp_u_f32 s[52:53], v[vgprValuC+184], v[vgprValuC+184] // check Nan
v_bfe_u32 v6, v[vgprValuC+184], 16, 1              // Non-Nan case: store lsb of bf16
v_add3_u32 v6, v[vgprValuC+184], v6, v9            // Non-Nan case: add lsb and the increment for rounding
v_cndmask_b32 v[vgprValuC+184], v6, v8, s[52:53]   // 
v_lshrrev_b32 v[vgprValuC+184], 16, v[vgprValuC+184] // convert C to bf16
v_cmp_u_f32 s[52:53], v[vgprValuC+185], v[vgprValuC+185] // check Nan
v_bfe_u32 v6, v[vgprValuC+185], 16, 1              // Non-Nan case: store lsb of bf16
v_add3_u32 v6, v[vgprValuC+185], v6, v9            // Non-Nan case: add lsb and the increment for rounding
v_cndmask_b32 v[vgprValuC+185], v6, v8, s[52:53]   // 
v_and_or_b32 v184, v[vgprValuC+185], v7, v[vgprValuC+184] // pack two bf16 to dword
s_lshl_b32  s52, s[sgprStrideD1J], 1               // incToNextRow: Scale by BPE
s_add_u32  s[sgprSrdD+0], s[sgprSrdD+0], s52       // incToNextRow: gra SRD += inc(lower)
s_addc_u32  s[sgprSrdD+1], s[sgprSrdD+1], 0        // incToNextRow: gra SRD += inc(upper)
_buffer_store_b32 v184, v10, s[sgprSrdD:sgprSrdD+3], 0, offen, offset:0,  sc0 sc1 // store D
v_cmp_u_f32 s[52:53], v[vgprValuC+186], v[vgprValuC+186] // check Nan
v_bfe_u32 v6, v[vgprValuC+186], 16, 1              // Non-Nan case: store lsb of bf16
v_add3_u32 v6, v[vgprValuC+186], v6, v9            // Non-Nan case: add lsb and the increment for rounding
v_cndmask_b32 v[vgprValuC+186], v6, v8, s[52:53]   // 
v_lshrrev_b32 v[vgprValuC+186], 16, v[vgprValuC+186] // convert C to bf16
v_cmp_u_f32 s[52:53], v[vgprValuC+187], v[vgprValuC+187] // check Nan
v_bfe_u32 v6, v[vgprValuC+187], 16, 1              // Non-Nan case: store lsb of bf16
v_add3_u32 v6, v[vgprValuC+187], v6, v9            // Non-Nan case: add lsb and the increment for rounding
v_cndmask_b32 v[vgprValuC+187], v6, v8, s[52:53]   // 
v_and_or_b32 v186, v[vgprValuC+187], v7, v[vgprValuC+186] // pack two bf16 to dword
_buffer_store_b32 v186, v10, s[sgprSrdD:sgprSrdD+3], 0, offen, offset:128,  sc0 sc1 // store D
v_cmp_u_f32 s[52:53], v[vgprValuC+188], v[vgprValuC+188] // check Nan
v_bfe_u32 v6, v[vgprValuC+188], 16, 1              // Non-Nan case: store lsb of bf16
v_add3_u32 v6, v[vgprValuC+188], v6, v9            // Non-Nan case: add lsb and the increment for rounding
v_cndmask_b32 v[vgprValuC+188], v6, v8, s[52:53]   // 
v_lshrrev_b32 v[vgprValuC+188], 16, v[vgprValuC+188] // convert C to bf16
v_cmp_u_f32 s[52:53], v[vgprValuC+189], v[vgprValuC+189] // check Nan
v_bfe_u32 v6, v[vgprValuC+189], 16, 1              // Non-Nan case: store lsb of bf16
v_add3_u32 v6, v[vgprValuC+189], v6, v9            // Non-Nan case: add lsb and the increment for rounding
v_cndmask_b32 v[vgprValuC+189], v6, v8, s[52:53]   // 
v_and_or_b32 v188, v[vgprValuC+189], v7, v[vgprValuC+188] // pack two bf16 to dword
_buffer_store_b32 v188, v10, s[sgprSrdD:sgprSrdD+3], 0, offen, offset:256,  sc0 sc1 // store D
v_cmp_u_f32 s[52:53], v[vgprValuC+190], v[vgprValuC+190] // check Nan
v_bfe_u32 v6, v[vgprValuC+190], 16, 1              // Non-Nan case: store lsb of bf16
v_add3_u32 v6, v[vgprValuC+190], v6, v9            // Non-Nan case: add lsb and the increment for rounding
v_cndmask_b32 v[vgprValuC+190], v6, v8, s[52:53]   // 
v_lshrrev_b32 v[vgprValuC+190], 16, v[vgprValuC+190] // convert C to bf16
v_cmp_u_f32 s[52:53], v[vgprValuC+191], v[vgprValuC+191] // check Nan
v_bfe_u32 v6, v[vgprValuC+191], 16, 1              // Non-Nan case: store lsb of bf16
v_add3_u32 v6, v[vgprValuC+191], v6, v9            // Non-Nan case: add lsb and the increment for rounding
v_cndmask_b32 v[vgprValuC+191], v6, v8, s[52:53]   // 
v_and_or_b32 v190, v[vgprValuC+191], v7, v[vgprValuC+190] // pack two bf16 to dword
_buffer_store_b32 v190, v10, s[sgprSrdD:sgprSrdD+3], 0, offen, offset:384,  sc0 sc1 // store D
v_cmp_u_f32 s[52:53], v[vgprValuC+192], v[vgprValuC+192] // check Nan
v_bfe_u32 v6, v[vgprValuC+192], 16, 1              // Non-Nan case: store lsb of bf16
v_add3_u32 v6, v[vgprValuC+192], v6, v9            // Non-Nan case: add lsb and the increment for rounding
v_cndmask_b32 v[vgprValuC+192], v6, v8, s[52:53]   // 
v_lshrrev_b32 v[vgprValuC+192], 16, v[vgprValuC+192] // convert C to bf16
v_cmp_u_f32 s[52:53], v[vgprValuC+193], v[vgprValuC+193] // check Nan
v_bfe_u32 v6, v[vgprValuC+193], 16, 1              // Non-Nan case: store lsb of bf16
v_add3_u32 v6, v[vgprValuC+193], v6, v9            // Non-Nan case: add lsb and the increment for rounding
v_cndmask_b32 v[vgprValuC+193], v6, v8, s[52:53]   // 
v_and_or_b32 v192, v[vgprValuC+193], v7, v[vgprValuC+192] // pack two bf16 to dword
s_lshl_b32  s52, s[sgprStrideD1J], 1               // incToNextRow: Scale by BPE
	;; [unrolled: 47-line block ×3, first 2 shown]
s_add_u32  s[sgprSrdD+0], s[sgprSrdD+0], s52       // incToNextRow: gra SRD += inc(lower)
s_addc_u32  s[sgprSrdD+1], s[sgprSrdD+1], 0        // incToNextRow: gra SRD += inc(upper)
_buffer_store_b32 v200, v10, s[sgprSrdD:sgprSrdD+3], 0, offen, offset:0,  sc0 sc1 // store D
v_cmp_u_f32 s[52:53], v[vgprValuC+202], v[vgprValuC+202] // check Nan
v_bfe_u32 v6, v[vgprValuC+202], 16, 1              // Non-Nan case: store lsb of bf16
v_add3_u32 v6, v[vgprValuC+202], v6, v9            // Non-Nan case: add lsb and the increment for rounding
v_cndmask_b32 v[vgprValuC+202], v6, v8, s[52:53]   // 
v_lshrrev_b32 v[vgprValuC+202], 16, v[vgprValuC+202] // convert C to bf16
v_cmp_u_f32 s[52:53], v[vgprValuC+203], v[vgprValuC+203] // check Nan
v_bfe_u32 v6, v[vgprValuC+203], 16, 1              // Non-Nan case: store lsb of bf16
v_add3_u32 v6, v[vgprValuC+203], v6, v9            // Non-Nan case: add lsb and the increment for rounding
v_cndmask_b32 v[vgprValuC+203], v6, v8, s[52:53]   // 
v_and_or_b32 v202, v[vgprValuC+203], v7, v[vgprValuC+202] // pack two bf16 to dword
_buffer_store_b32 v202, v10, s[sgprSrdD:sgprSrdD+3], 0, offen, offset:128,  sc0 sc1 // store D
v_cmp_u_f32 s[52:53], v[vgprValuC+204], v[vgprValuC+204] // check Nan
v_bfe_u32 v6, v[vgprValuC+204], 16, 1              // Non-Nan case: store lsb of bf16
v_add3_u32 v6, v[vgprValuC+204], v6, v9            // Non-Nan case: add lsb and the increment for rounding
v_cndmask_b32 v[vgprValuC+204], v6, v8, s[52:53]   // 
v_lshrrev_b32 v[vgprValuC+204], 16, v[vgprValuC+204] // convert C to bf16
v_cmp_u_f32 s[52:53], v[vgprValuC+205], v[vgprValuC+205] // check Nan
v_bfe_u32 v6, v[vgprValuC+205], 16, 1              // Non-Nan case: store lsb of bf16
v_add3_u32 v6, v[vgprValuC+205], v6, v9            // Non-Nan case: add lsb and the increment for rounding
v_cndmask_b32 v[vgprValuC+205], v6, v8, s[52:53]   // 
v_and_or_b32 v204, v[vgprValuC+205], v7, v[vgprValuC+204] // pack two bf16 to dword
	;; [unrolled: 11-line block ×4, first 2 shown]
s_mul_i32 s52, s[sgprStrideD1J], 58                // scale StrideD *= numRows(29) * bpe
s_add_u32  s[sgprSrdD+0], s[sgprSrdD+0], s52       // incToNextRow: gra SRD += inc(lower)
s_addc_u32  s[sgprSrdD+1], s[sgprSrdD+1], 0        // incToNextRow: gra SRD += inc(upper)
_buffer_store_b32 v208, v10, s[sgprSrdD:sgprSrdD+3], 0, offen, offset:0,  sc0 sc1 // store D
v_cmp_u_f32 s[52:53], v[vgprValuC+210], v[vgprValuC+210] // check Nan
v_bfe_u32 v6, v[vgprValuC+210], 16, 1              // Non-Nan case: store lsb of bf16
v_add3_u32 v6, v[vgprValuC+210], v6, v9            // Non-Nan case: add lsb and the increment for rounding
v_cndmask_b32 v[vgprValuC+210], v6, v8, s[52:53]   // 
v_lshrrev_b32 v[vgprValuC+210], 16, v[vgprValuC+210] // convert C to bf16
v_cmp_u_f32 s[52:53], v[vgprValuC+211], v[vgprValuC+211] // check Nan
v_bfe_u32 v6, v[vgprValuC+211], 16, 1              // Non-Nan case: store lsb of bf16
v_add3_u32 v6, v[vgprValuC+211], v6, v9            // Non-Nan case: add lsb and the increment for rounding
v_cndmask_b32 v[vgprValuC+211], v6, v8, s[52:53]   // 
v_and_or_b32 v210, v[vgprValuC+211], v7, v[vgprValuC+210] // pack two bf16 to dword
_buffer_store_b32 v210, v10, s[sgprSrdD:sgprSrdD+3], 0, offen, offset:128,  sc0 sc1 // store D
v_cmp_u_f32 s[52:53], v[vgprValuC+212], v[vgprValuC+212] // check Nan
v_bfe_u32 v6, v[vgprValuC+212], 16, 1              // Non-Nan case: store lsb of bf16
v_add3_u32 v6, v[vgprValuC+212], v6, v9            // Non-Nan case: add lsb and the increment for rounding
v_cndmask_b32 v[vgprValuC+212], v6, v8, s[52:53]   // 
v_lshrrev_b32 v[vgprValuC+212], 16, v[vgprValuC+212] // convert C to bf16
v_cmp_u_f32 s[52:53], v[vgprValuC+213], v[vgprValuC+213] // check Nan
v_bfe_u32 v6, v[vgprValuC+213], 16, 1              // Non-Nan case: store lsb of bf16
v_add3_u32 v6, v[vgprValuC+213], v6, v9            // Non-Nan case: add lsb and the increment for rounding
v_cndmask_b32 v[vgprValuC+213], v6, v8, s[52:53]   // 
v_and_or_b32 v212, v[vgprValuC+213], v7, v[vgprValuC+212] // pack two bf16 to dword
_buffer_store_b32 v212, v10, s[sgprSrdD:sgprSrdD+3], 0, offen, offset:256,  sc0 sc1 // store D
v_cmp_u_f32 s[52:53], v[vgprValuC+214], v[vgprValuC+214] // check Nan
v_bfe_u32 v6, v[vgprValuC+214], 16, 1              // Non-Nan case: store lsb of bf16
v_add3_u32 v6, v[vgprValuC+214], v6, v9            // Non-Nan case: add lsb and the increment for rounding
v_cndmask_b32 v[vgprValuC+214], v6, v8, s[52:53]   // 
v_lshrrev_b32 v[vgprValuC+214], 16, v[vgprValuC+214] // convert C to bf16
v_cmp_u_f32 s[52:53], v[vgprValuC+215], v[vgprValuC+215] // check Nan
v_bfe_u32 v6, v[vgprValuC+215], 16, 1              // Non-Nan case: store lsb of bf16
v_add3_u32 v6, v[vgprValuC+215], v6, v9            // Non-Nan case: add lsb and the increment for rounding
v_cndmask_b32 v[vgprValuC+215], v6, v8, s[52:53]   // 
v_and_or_b32 v214, v[vgprValuC+215], v7, v[vgprValuC+214] // pack two bf16 to dword
_buffer_store_b32 v214, v10, s[sgprSrdD:sgprSrdD+3], 0, offen, offset:384,  sc0 sc1 // store D
v_cmp_u_f32 s[52:53], v[vgprValuC+216], v[vgprValuC+216] // check Nan
v_bfe_u32 v6, v[vgprValuC+216], 16, 1              // Non-Nan case: store lsb of bf16
v_add3_u32 v6, v[vgprValuC+216], v6, v9            // Non-Nan case: add lsb and the increment for rounding
v_cndmask_b32 v[vgprValuC+216], v6, v8, s[52:53]   // 
v_lshrrev_b32 v[vgprValuC+216], 16, v[vgprValuC+216] // convert C to bf16
v_cmp_u_f32 s[52:53], v[vgprValuC+217], v[vgprValuC+217] // check Nan
v_bfe_u32 v6, v[vgprValuC+217], 16, 1              // Non-Nan case: store lsb of bf16
v_add3_u32 v6, v[vgprValuC+217], v6, v9            // Non-Nan case: add lsb and the increment for rounding
v_cndmask_b32 v[vgprValuC+217], v6, v8, s[52:53]   // 
v_and_or_b32 v216, v[vgprValuC+217], v7, v[vgprValuC+216] // pack two bf16 to dword
s_lshl_b32  s52, s[sgprStrideD1J], 1               // incToNextRow: Scale by BPE
s_add_u32  s[sgprSrdD+0], s[sgprSrdD+0], s52       // incToNextRow: gra SRD += inc(lower)
s_addc_u32  s[sgprSrdD+1], s[sgprSrdD+1], 0        // incToNextRow: gra SRD += inc(upper)
_buffer_store_b32 v216, v10, s[sgprSrdD:sgprSrdD+3], 0, offen, offset:0,  sc0 sc1 // store D
v_cmp_u_f32 s[52:53], v[vgprValuC+218], v[vgprValuC+218] // check Nan
v_bfe_u32 v6, v[vgprValuC+218], 16, 1              // Non-Nan case: store lsb of bf16
v_add3_u32 v6, v[vgprValuC+218], v6, v9            // Non-Nan case: add lsb and the increment for rounding
v_cndmask_b32 v[vgprValuC+218], v6, v8, s[52:53]   // 
v_lshrrev_b32 v[vgprValuC+218], 16, v[vgprValuC+218] // convert C to bf16
v_cmp_u_f32 s[52:53], v[vgprValuC+219], v[vgprValuC+219] // check Nan
v_bfe_u32 v6, v[vgprValuC+219], 16, 1              // Non-Nan case: store lsb of bf16
v_add3_u32 v6, v[vgprValuC+219], v6, v9            // Non-Nan case: add lsb and the increment for rounding
v_cndmask_b32 v[vgprValuC+219], v6, v8, s[52:53]   // 
v_and_or_b32 v218, v[vgprValuC+219], v7, v[vgprValuC+218] // pack two bf16 to dword
_buffer_store_b32 v218, v10, s[sgprSrdD:sgprSrdD+3], 0, offen, offset:128,  sc0 sc1 // store D
v_cmp_u_f32 s[52:53], v[vgprValuC+220], v[vgprValuC+220] // check Nan
v_bfe_u32 v6, v[vgprValuC+220], 16, 1              // Non-Nan case: store lsb of bf16
v_add3_u32 v6, v[vgprValuC+220], v6, v9            // Non-Nan case: add lsb and the increment for rounding
v_cndmask_b32 v[vgprValuC+220], v6, v8, s[52:53]   // 
v_lshrrev_b32 v[vgprValuC+220], 16, v[vgprValuC+220] // convert C to bf16
v_cmp_u_f32 s[52:53], v[vgprValuC+221], v[vgprValuC+221] // check Nan
v_bfe_u32 v6, v[vgprValuC+221], 16, 1              // Non-Nan case: store lsb of bf16
v_add3_u32 v6, v[vgprValuC+221], v6, v9            // Non-Nan case: add lsb and the increment for rounding
v_cndmask_b32 v[vgprValuC+221], v6, v8, s[52:53]   // 
v_and_or_b32 v220, v[vgprValuC+221], v7, v[vgprValuC+220] // pack two bf16 to dword
_buffer_store_b32 v220, v10, s[sgprSrdD:sgprSrdD+3], 0, offen, offset:256,  sc0 sc1 // store D
v_cmp_u_f32 s[52:53], v[vgprValuC+222], v[vgprValuC+222] // check Nan
v_bfe_u32 v6, v[vgprValuC+222], 16, 1              // Non-Nan case: store lsb of bf16
v_add3_u32 v6, v[vgprValuC+222], v6, v9            // Non-Nan case: add lsb and the increment for rounding
v_cndmask_b32 v[vgprValuC+222], v6, v8, s[52:53]   // 
v_lshrrev_b32 v[vgprValuC+222], 16, v[vgprValuC+222] // convert C to bf16
v_cmp_u_f32 s[52:53], v[vgprValuC+223], v[vgprValuC+223] // check Nan
v_bfe_u32 v6, v[vgprValuC+223], 16, 1              // Non-Nan case: store lsb of bf16
v_add3_u32 v6, v[vgprValuC+223], v6, v9            // Non-Nan case: add lsb and the increment for rounding
v_cndmask_b32 v[vgprValuC+223], v6, v8, s[52:53]   // 
v_and_or_b32 v222, v[vgprValuC+223], v7, v[vgprValuC+222] // pack two bf16 to dword
_buffer_store_b32 v222, v10, s[sgprSrdD:sgprSrdD+3], 0, offen, offset:384,  sc0 sc1 // store D
v_cmp_u_f32 s[52:53], v[vgprValuC+224], v[vgprValuC+224] // check Nan
v_bfe_u32 v6, v[vgprValuC+224], 16, 1              // Non-Nan case: store lsb of bf16
v_add3_u32 v6, v[vgprValuC+224], v6, v9            // Non-Nan case: add lsb and the increment for rounding
v_cndmask_b32 v[vgprValuC+224], v6, v8, s[52:53]   // 
v_lshrrev_b32 v[vgprValuC+224], 16, v[vgprValuC+224] // convert C to bf16
v_cmp_u_f32 s[52:53], v[vgprValuC+225], v[vgprValuC+225] // check Nan
v_bfe_u32 v6, v[vgprValuC+225], 16, 1              // Non-Nan case: store lsb of bf16
v_add3_u32 v6, v[vgprValuC+225], v6, v9            // Non-Nan case: add lsb and the increment for rounding
v_cndmask_b32 v[vgprValuC+225], v6, v8, s[52:53]   // 
v_and_or_b32 v224, v[vgprValuC+225], v7, v[vgprValuC+224] // pack two bf16 to dword
s_lshl_b32  s52, s[sgprStrideD1J], 1               // incToNextRow: Scale by BPE
	;; [unrolled: 47-line block ×3, first 2 shown]
s_add_u32  s[sgprSrdD+0], s[sgprSrdD+0], s52       // incToNextRow: gra SRD += inc(lower)
s_addc_u32  s[sgprSrdD+1], s[sgprSrdD+1], 0        // incToNextRow: gra SRD += inc(upper)
_buffer_store_b32 v232, v10, s[sgprSrdD:sgprSrdD+3], 0, offen, offset:0,  sc0 sc1 // store D
v_cmp_u_f32 s[52:53], v[vgprValuC+234], v[vgprValuC+234] // check Nan
v_bfe_u32 v6, v[vgprValuC+234], 16, 1              // Non-Nan case: store lsb of bf16
v_add3_u32 v6, v[vgprValuC+234], v6, v9            // Non-Nan case: add lsb and the increment for rounding
v_cndmask_b32 v[vgprValuC+234], v6, v8, s[52:53]   // 
v_lshrrev_b32 v[vgprValuC+234], 16, v[vgprValuC+234] // convert C to bf16
v_cmp_u_f32 s[52:53], v[vgprValuC+235], v[vgprValuC+235] // check Nan
v_bfe_u32 v6, v[vgprValuC+235], 16, 1              // Non-Nan case: store lsb of bf16
v_add3_u32 v6, v[vgprValuC+235], v6, v9            // Non-Nan case: add lsb and the increment for rounding
v_cndmask_b32 v[vgprValuC+235], v6, v8, s[52:53]   // 
v_and_or_b32 v234, v[vgprValuC+235], v7, v[vgprValuC+234] // pack two bf16 to dword
_buffer_store_b32 v234, v10, s[sgprSrdD:sgprSrdD+3], 0, offen, offset:128,  sc0 sc1 // store D
v_cmp_u_f32 s[52:53], v[vgprValuC+236], v[vgprValuC+236] // check Nan
v_bfe_u32 v6, v[vgprValuC+236], 16, 1              // Non-Nan case: store lsb of bf16
v_add3_u32 v6, v[vgprValuC+236], v6, v9            // Non-Nan case: add lsb and the increment for rounding
v_cndmask_b32 v[vgprValuC+236], v6, v8, s[52:53]   // 
v_lshrrev_b32 v[vgprValuC+236], 16, v[vgprValuC+236] // convert C to bf16
v_cmp_u_f32 s[52:53], v[vgprValuC+237], v[vgprValuC+237] // check Nan
v_bfe_u32 v6, v[vgprValuC+237], 16, 1              // Non-Nan case: store lsb of bf16
v_add3_u32 v6, v[vgprValuC+237], v6, v9            // Non-Nan case: add lsb and the increment for rounding
v_cndmask_b32 v[vgprValuC+237], v6, v8, s[52:53]   // 
v_and_or_b32 v236, v[vgprValuC+237], v7, v[vgprValuC+236] // pack two bf16 to dword
	;; [unrolled: 11-line block ×4, first 2 shown]
s_mul_i32 s52, s[sgprStrideD1J], 58                // scale StrideD *= numRows(29) * bpe
s_add_u32  s[sgprSrdD+0], s[sgprSrdD+0], s52       // incToNextRow: gra SRD += inc(lower)
s_addc_u32  s[sgprSrdD+1], s[sgprSrdD+1], 0        // incToNextRow: gra SRD += inc(upper)
_buffer_store_b32 v240, v10, s[sgprSrdD:sgprSrdD+3], 0, offen, offset:0,  sc0 sc1 // store D
v_cmp_u_f32 s[52:53], v[vgprValuC+242], v[vgprValuC+242] // check Nan
v_bfe_u32 v6, v[vgprValuC+242], 16, 1              // Non-Nan case: store lsb of bf16
v_add3_u32 v6, v[vgprValuC+242], v6, v9            // Non-Nan case: add lsb and the increment for rounding
v_cndmask_b32 v[vgprValuC+242], v6, v8, s[52:53]   // 
v_lshrrev_b32 v[vgprValuC+242], 16, v[vgprValuC+242] // convert C to bf16
v_cmp_u_f32 s[52:53], v[vgprValuC+243], v[vgprValuC+243] // check Nan
v_bfe_u32 v6, v[vgprValuC+243], 16, 1              // Non-Nan case: store lsb of bf16
v_add3_u32 v6, v[vgprValuC+243], v6, v9            // Non-Nan case: add lsb and the increment for rounding
v_cndmask_b32 v[vgprValuC+243], v6, v8, s[52:53]   // 
v_and_or_b32 v242, v[vgprValuC+243], v7, v[vgprValuC+242] // pack two bf16 to dword
_buffer_store_b32 v242, v10, s[sgprSrdD:sgprSrdD+3], 0, offen, offset:128,  sc0 sc1 // store D
v_cmp_u_f32 s[52:53], v[vgprValuC+244], v[vgprValuC+244] // check Nan
v_bfe_u32 v6, v[vgprValuC+244], 16, 1              // Non-Nan case: store lsb of bf16
v_add3_u32 v6, v[vgprValuC+244], v6, v9            // Non-Nan case: add lsb and the increment for rounding
v_cndmask_b32 v[vgprValuC+244], v6, v8, s[52:53]   // 
v_lshrrev_b32 v[vgprValuC+244], 16, v[vgprValuC+244] // convert C to bf16
v_cmp_u_f32 s[52:53], v[vgprValuC+245], v[vgprValuC+245] // check Nan
v_bfe_u32 v6, v[vgprValuC+245], 16, 1              // Non-Nan case: store lsb of bf16
v_add3_u32 v6, v[vgprValuC+245], v6, v9            // Non-Nan case: add lsb and the increment for rounding
v_cndmask_b32 v[vgprValuC+245], v6, v8, s[52:53]   // 
v_and_or_b32 v244, v[vgprValuC+245], v7, v[vgprValuC+244] // pack two bf16 to dword
	;; [unrolled: 11-line block ×4, first 2 shown]
s_lshl_b32  s52, s[sgprStrideD1J], 1               // incToNextRow: Scale by BPE
s_add_u32  s[sgprSrdD+0], s[sgprSrdD+0], s52       // incToNextRow: gra SRD += inc(lower)
s_addc_u32  s[sgprSrdD+1], s[sgprSrdD+1], 0        // incToNextRow: gra SRD += inc(upper)
_buffer_store_b32 v248, v10, s[sgprSrdD:sgprSrdD+3], 0, offen, offset:0,  sc0 sc1 // store D
v_cmp_u_f32 s[52:53], v[vgprValuC+250], v[vgprValuC+250] // check Nan
v_bfe_u32 v6, v[vgprValuC+250], 16, 1              // Non-Nan case: store lsb of bf16
v_add3_u32 v6, v[vgprValuC+250], v6, v9            // Non-Nan case: add lsb and the increment for rounding
v_cndmask_b32 v[vgprValuC+250], v6, v8, s[52:53]   // 
v_lshrrev_b32 v[vgprValuC+250], 16, v[vgprValuC+250] // convert C to bf16
v_cmp_u_f32 s[52:53], v[vgprValuC+251], v[vgprValuC+251] // check Nan
v_bfe_u32 v6, v[vgprValuC+251], 16, 1              // Non-Nan case: store lsb of bf16
v_add3_u32 v6, v[vgprValuC+251], v6, v9            // Non-Nan case: add lsb and the increment for rounding
v_cndmask_b32 v[vgprValuC+251], v6, v8, s[52:53]   // 
v_and_or_b32 v250, v[vgprValuC+251], v7, v[vgprValuC+250] // pack two bf16 to dword
_buffer_store_b32 v250, v10, s[sgprSrdD:sgprSrdD+3], 0, offen, offset:128,  sc0 sc1 // store D
v_cmp_u_f32 s[52:53], v[vgprValuC+252], v[vgprValuC+252] // check Nan
v_bfe_u32 v6, v[vgprValuC+252], 16, 1              // Non-Nan case: store lsb of bf16
v_add3_u32 v6, v[vgprValuC+252], v6, v9            // Non-Nan case: add lsb and the increment for rounding
v_cndmask_b32 v[vgprValuC+252], v6, v8, s[52:53]   // 
v_lshrrev_b32 v[vgprValuC+252], 16, v[vgprValuC+252] // convert C to bf16
v_cmp_u_f32 s[52:53], v[vgprValuC+253], v[vgprValuC+253] // check Nan
v_bfe_u32 v6, v[vgprValuC+253], 16, 1              // Non-Nan case: store lsb of bf16
v_add3_u32 v6, v[vgprValuC+253], v6, v9            // Non-Nan case: add lsb and the increment for rounding
v_cndmask_b32 v[vgprValuC+253], v6, v8, s[52:53]   // 
v_and_or_b32 v252, v[vgprValuC+253], v7, v[vgprValuC+252] // pack two bf16 to dword
	;; [unrolled: 11-line block ×3, first 2 shown]
_buffer_store_b32 v254, v10, s[sgprSrdD:sgprSrdD+3], 0, offen, offset:384,  sc0 sc1 // store D
s_nop 0                                            // 1 wait state required when next inst writes vgprs held by previous dwordx4 store inst
/* optSingleColVgpr=1 optSharedColVgpr=0 optSGPRUsage=BufferLoad_Mask optSrdIncForRow=1 */

/******************************************/
/* Global Write Alpha Batch #1 (d1,d0,vc1,vc0) = */
/*    (7,0,2,0:vw2); (7,1,2,0:vw2); (7,2,2,0:vw2); (7,3,2,0:vw2); (7,0,3,0:vw2); (7,1,3,0:vw2); (7,2,3,0:vw2); (7,3,3,0:vw2) */
/******************************************/

/* calc coords, apply mask, and issue loads (if necessary) */
/* (d1,vc1,d0,vc0)=(7,2,0,0) */
/* (d1,vc1,d0,vc0)=(7,2,1,0) */
	;; [unrolled: 1-line block ×8, first 2 shown]
v_accvgpr_read_b32 v[vgprValuC+12], acc226 // copy acc to vreg[240]
v_accvgpr_read_b32 v[vgprValuC+13], acc230 // copy acc to vreg[241]
v_accvgpr_read_b32 v[vgprValuC+14], acc234 // copy acc to vreg[242]
v_accvgpr_read_b32 v[vgprValuC+15], acc238 // copy acc to vreg[243]
v_accvgpr_read_b32 v[vgprValuC+16], acc242 // copy acc to vreg[244]
v_accvgpr_read_b32 v[vgprValuC+17], acc246 // copy acc to vreg[245]
v_accvgpr_read_b32 v[vgprValuC+18], acc250 // copy acc to vreg[246]
v_accvgpr_read_b32 v[vgprValuC+19], acc254 // copy acc to vreg[247]
v_accvgpr_read_b32 v[vgprValuC+20], acc227 // copy acc to vreg[248]
v_accvgpr_read_b32 v[vgprValuC+21], acc231 // copy acc to vreg[249]
v_accvgpr_read_b32 v[vgprValuC+22], acc235 // copy acc to vreg[250]
v_accvgpr_read_b32 v[vgprValuC+23], acc239 // copy acc to vreg[251]
v_accvgpr_read_b32 v[vgprValuC+24], acc243 // copy acc to vreg[252]
v_accvgpr_read_b32 v[vgprValuC+25], acc247 // copy acc to vreg[253]
v_accvgpr_read_b32 v[vgprValuC+26], acc251 // copy acc to vreg[254]
v_accvgpr_read_b32 v[vgprValuC+27], acc255 // copy acc to vreg[255]
s_nop 1                                            // 2 wait states required before reading vgpr

/* rC *= alpha batchElements=[(7, 0, 2, 0), (7, 1, 2, 0), (7, 2, 2, 0), (7, 3, 2, 0), (7, 0, 3, 0), (7, 1, 3, 0), (7, 2, 3, 0), (7, 3, 3, 0)] */
v_mul_f32 v[vgprValuC+12], s[sgprAlpha], v[vgprValuC+12] // *= alpha
v_mul_f32 v[vgprValuC+13], s[sgprAlpha], v[vgprValuC+13] // *= alpha
	;; [unrolled: 1-line block ×16, first 2 shown]

/* apply mask, calc new C and issue writes */
v_mov_b32 v7, 0xffff0000                           // mask for pack two bfloat16 element to 32bit
v_mov_b32 v8, 0x7fff0000                           // fp32 Nan
v_mov_b32 v9, 0x7fff                               // rounding bias for bfloat16
v_cmp_u_f32 s[52:53], v[vgprValuC+12], v[vgprValuC+12] // check Nan
v_bfe_u32 v6, v[vgprValuC+12], 16, 1               // Non-Nan case: store lsb of bf16
v_add3_u32 v6, v[vgprValuC+12], v6, v9             // Non-Nan case: add lsb and the increment for rounding
v_cndmask_b32 v[vgprValuC+12], v6, v8, s[52:53]    // 
v_lshrrev_b32 v[vgprValuC+12], 16, v[vgprValuC+12] // convert C to bf16
v_cmp_u_f32 s[52:53], v[vgprValuC+13], v[vgprValuC+13] // check Nan
v_bfe_u32 v6, v[vgprValuC+13], 16, 1               // Non-Nan case: store lsb of bf16
v_add3_u32 v6, v[vgprValuC+13], v6, v9             // Non-Nan case: add lsb and the increment for rounding
v_cndmask_b32 v[vgprValuC+13], v6, v8, s[52:53]    // 
v_and_or_b32 v12, v[vgprValuC+13], v7, v[vgprValuC+12] // pack two bf16 to dword
s_lshl_b32  s52, s[sgprStrideD1J], 1               // incToNextRow: Scale by BPE
s_add_u32  s[sgprSrdD+0], s[sgprSrdD+0], s52       // incToNextRow: gra SRD += inc(lower)
s_addc_u32  s[sgprSrdD+1], s[sgprSrdD+1], 0        // incToNextRow: gra SRD += inc(upper)
_buffer_store_b32 v12, v10, s[sgprSrdD:sgprSrdD+3], 0, offen, offset:0,  sc0 sc1 // store D
v_cmp_u_f32 s[52:53], v[vgprValuC+14], v[vgprValuC+14] // check Nan
v_bfe_u32 v6, v[vgprValuC+14], 16, 1               // Non-Nan case: store lsb of bf16
v_add3_u32 v6, v[vgprValuC+14], v6, v9             // Non-Nan case: add lsb and the increment for rounding
v_cndmask_b32 v[vgprValuC+14], v6, v8, s[52:53]    // 
v_lshrrev_b32 v[vgprValuC+14], 16, v[vgprValuC+14] // convert C to bf16
v_cmp_u_f32 s[52:53], v[vgprValuC+15], v[vgprValuC+15] // check Nan
v_bfe_u32 v6, v[vgprValuC+15], 16, 1               // Non-Nan case: store lsb of bf16
v_add3_u32 v6, v[vgprValuC+15], v6, v9             // Non-Nan case: add lsb and the increment for rounding
v_cndmask_b32 v[vgprValuC+15], v6, v8, s[52:53]    // 
v_and_or_b32 v14, v[vgprValuC+15], v7, v[vgprValuC+14] // pack two bf16 to dword
_buffer_store_b32 v14, v10, s[sgprSrdD:sgprSrdD+3], 0, offen, offset:128,  sc0 sc1 // store D
v_cmp_u_f32 s[52:53], v[vgprValuC+16], v[vgprValuC+16] // check Nan
v_bfe_u32 v6, v[vgprValuC+16], 16, 1               // Non-Nan case: store lsb of bf16
v_add3_u32 v6, v[vgprValuC+16], v6, v9             // Non-Nan case: add lsb and the increment for rounding
v_cndmask_b32 v[vgprValuC+16], v6, v8, s[52:53]    // 
v_lshrrev_b32 v[vgprValuC+16], 16, v[vgprValuC+16] // convert C to bf16
v_cmp_u_f32 s[52:53], v[vgprValuC+17], v[vgprValuC+17] // check Nan
v_bfe_u32 v6, v[vgprValuC+17], 16, 1               // Non-Nan case: store lsb of bf16
v_add3_u32 v6, v[vgprValuC+17], v6, v9             // Non-Nan case: add lsb and the increment for rounding
v_cndmask_b32 v[vgprValuC+17], v6, v8, s[52:53]    // 
v_and_or_b32 v16, v[vgprValuC+17], v7, v[vgprValuC+16] // pack two bf16 to dword
	;; [unrolled: 11-line block ×4, first 2 shown]
s_lshl_b32  s52, s[sgprStrideD1J], 1               // incToNextRow: Scale by BPE
s_add_u32  s[sgprSrdD+0], s[sgprSrdD+0], s52       // incToNextRow: gra SRD += inc(lower)
s_addc_u32  s[sgprSrdD+1], s[sgprSrdD+1], 0        // incToNextRow: gra SRD += inc(upper)
_buffer_store_b32 v20, v10, s[sgprSrdD:sgprSrdD+3], 0, offen, offset:0,  sc0 sc1 // store D
v_cmp_u_f32 s[52:53], v[vgprValuC+22], v[vgprValuC+22] // check Nan
v_bfe_u32 v6, v[vgprValuC+22], 16, 1               // Non-Nan case: store lsb of bf16
v_add3_u32 v6, v[vgprValuC+22], v6, v9             // Non-Nan case: add lsb and the increment for rounding
v_cndmask_b32 v[vgprValuC+22], v6, v8, s[52:53]    // 
v_lshrrev_b32 v[vgprValuC+22], 16, v[vgprValuC+22] // convert C to bf16
v_cmp_u_f32 s[52:53], v[vgprValuC+23], v[vgprValuC+23] // check Nan
v_bfe_u32 v6, v[vgprValuC+23], 16, 1               // Non-Nan case: store lsb of bf16
v_add3_u32 v6, v[vgprValuC+23], v6, v9             // Non-Nan case: add lsb and the increment for rounding
v_cndmask_b32 v[vgprValuC+23], v6, v8, s[52:53]    // 
v_and_or_b32 v22, v[vgprValuC+23], v7, v[vgprValuC+22] // pack two bf16 to dword
_buffer_store_b32 v22, v10, s[sgprSrdD:sgprSrdD+3], 0, offen, offset:128,  sc0 sc1 // store D
v_cmp_u_f32 s[52:53], v[vgprValuC+24], v[vgprValuC+24] // check Nan
v_bfe_u32 v6, v[vgprValuC+24], 16, 1               // Non-Nan case: store lsb of bf16
v_add3_u32 v6, v[vgprValuC+24], v6, v9             // Non-Nan case: add lsb and the increment for rounding
v_cndmask_b32 v[vgprValuC+24], v6, v8, s[52:53]    // 
v_lshrrev_b32 v[vgprValuC+24], 16, v[vgprValuC+24] // convert C to bf16
v_cmp_u_f32 s[52:53], v[vgprValuC+25], v[vgprValuC+25] // check Nan
v_bfe_u32 v6, v[vgprValuC+25], 16, 1               // Non-Nan case: store lsb of bf16
v_add3_u32 v6, v[vgprValuC+25], v6, v9             // Non-Nan case: add lsb and the increment for rounding
v_cndmask_b32 v[vgprValuC+25], v6, v8, s[52:53]    // 
v_and_or_b32 v24, v[vgprValuC+25], v7, v[vgprValuC+24] // pack two bf16 to dword
	;; [unrolled: 11-line block ×3, first 2 shown]
_buffer_store_b32 v26, v10, s[sgprSrdD:sgprSrdD+3], 0, offen, offset:384,  sc0 sc1 // store D
s_nop 0                                            // 1 wait state required when next inst writes vgprs held by previous dwordx4 store inst
s_branch label_GW_End_42                           // jump to end
GW_B0_E1_34:

/* edge=1, allocate 6 sgpr. perBatchTmpS=4 perBatchMaskS=2 perElementMaskS=0 elementsPerBatch=80 */
/* optSingleColVgpr=0 optSharedColVgpr=0 optSGPRUsage=BufferLoad_Edge_Mask optSrdIncForRow=0 */

/******************************************/
/* Global Write Alpha Edge Batch #0 (d1,d0,vc1,vc0) = */
/*    (0,0,0,0:vw2); (0,1,0,0:vw2); (0,2,0,0:vw2); (0,3,0,0:vw2); (0,0,1,0:vw2); (0,1,1,0:vw2); (0,2,1,0:vw2); (0,3,1,0:vw2); (0,0,2,0:vw2); (0,1,2,0:vw2); (0,2,2,0:vw2); (0,3,2,0:vw2); (0,0,3,0:vw2); (0,1,3,0:vw2); (0,2,3,0:vw2); (0,3,3,0:vw2); (1,0,0,0:vw2); (1,1,0,0:vw2); (1,2,0,0:vw2); (1,3,0,0:vw2); (1,0,1,0:vw2); (1,1,1,0:vw2); (1,2,1,0:vw2); (1,3,1,0:vw2); (1,0,2,0:vw2); (1,1,2,0:vw2); (1,2,2,0:vw2); (1,3,2,0:vw2); (1,0,3,0:vw2); (1,1,3,0:vw2); (1,2,3,0:vw2); (1,3,3,0:vw2); (2,0,0,0:vw2); (2,1,0,0:vw2); (2,2,0,0:vw2); (2,3,0,0:vw2); (2,0,1,0:vw2); (2,1,1,0:vw2); (2,2,1,0:vw2); (2,3,1,0:vw2); (2,0,2,0:vw2); (2,1,2,0:vw2); (2,2,2,0:vw2); (2,3,2,0:vw2); (2,0,3,0:vw2); (2,1,3,0:vw2); (2,2,3,0:vw2); (2,3,3,0:vw2); (3,0,0,0:vw2); (3,1,0,0:vw2); (3,2,0,0:vw2); (3,3,0,0:vw2); (3,0,1,0:vw2); (3,1,1,0:vw2); (3,2,1,0:vw2); (3,3,1,0:vw2); (3,0,2,0:vw2); (3,1,2,0:vw2); (3,2,2,0:vw2); (3,3,2,0:vw2); (3,0,3,0:vw2); (3,1,3,0:vw2); (3,2,3,0:vw2); (3,3,3,0:vw2); (4,0,0,0:vw2); (4,1,0,0:vw2); (4,2,0,0:vw2); (4,3,0,0:vw2); (4,0,1,0:vw2); (4,1,1,0:vw2); (4,2,1,0:vw2); (4,3,1,0:vw2); (4,0,2,0:vw2); (4,1,2,0:vw2); (4,2,2,0:vw2); (4,3,2,0:vw2); (4,0,3,0:vw2); (4,1,3,0:vw2); (4,2,3,0:vw2); (4,3,3,0:vw2) */
/******************************************/

/* calc coords, apply mask, and issue loads (if necessary) */
/* (d1,vc1,d0,vc0)=(0,0,0,0) */
v_cmp_lt_u32 s[52:53], v0, s[sgprSizeI]            // coord0 < size0
v_cmp_lt_u32 s[56:57], v1, s[sgprSizeJ]            // coord1 < size1
s_and_b64 s[56:57], s[52:53], s[56:57]             // in0 && in1
_v_add_lshl_u32 v10, v3, v0, 0x1                   // scaleToBpe: accumulate d0 lower and *= bpe into Cin addr
v_cndmask_b32 v10, -1, v10, s[56:57]               // LDD clip if OOB. offset
/* (d1,vc1,d0,vc0)=(0,0,1,0) */
_v_add_co_u32 v4, vcc, v0, 64                      // coord0.1: coord0 += d0*sg0*VW + vc0
v_cmp_lt_u32 s[52:53], v4, s[sgprSizeI]            // coord0 < size0
v_cmp_lt_u32 s[56:57], v1, s[sgprSizeJ]            // coord1 < size1
s_and_b64 s[56:57], s[52:53], s[56:57]             // in0 && in1
_v_add_lshl_u32 v11, v3, v4, 0x1                   // scaleToBpe: accumulate d0 lower and *= bpe into Cin addr
v_cndmask_b32 v11, -1, v11, s[56:57]               // LDD clip if OOB. offset
/* (d1,vc1,d0,vc0)=(0,0,2,0) */
s_mov_b32 s52, 128                                 // coordOffset0 d0=2 vc0=0
_v_add_co_u32 v4, vcc, v0, s52                     // coord0.2: coord0 += d0*sg0*VW + vc0
v_cmp_lt_u32 s[52:53], v4, s[sgprSizeI]            // coord0 < size0
v_cmp_lt_u32 s[56:57], v1, s[sgprSizeJ]            // coord1 < size1
s_and_b64 s[56:57], s[52:53], s[56:57]             // in0 && in1
_v_add_lshl_u32 v16, v3, v4, 0x1                   // scaleToBpe: accumulate d0 lower and *= bpe into Cin addr
v_cndmask_b32 v16, -1, v16, s[56:57]               // LDD clip if OOB. offset
/* (d1,vc1,d0,vc0)=(0,0,3,0) */
s_mov_b32 s52, 192                                 // coordOffset0 d0=3 vc0=0
_v_add_co_u32 v4, vcc, v0, s52                     // coord0.2: coord0 += d0*sg0*VW + vc0
v_cmp_lt_u32 s[52:53], v4, s[sgprSizeI]            // coord0 < size0
v_cmp_lt_u32 s[56:57], v1, s[sgprSizeJ]            // coord1 < size1
s_and_b64 s[56:57], s[52:53], s[56:57]             // in0 && in1
_v_add_lshl_u32 v17, v3, v4, 0x1                   // scaleToBpe: accumulate d0 lower and *= bpe into Cin addr
v_cndmask_b32 v17, -1, v17, s[56:57]               // LDD clip if OOB. offset
/* (d1,vc1,d0,vc0)=(0,1,0,0) */
_v_add_co_u32 v1, vcc, v1, 1                       // coord1.1: coord1Vgpr += d1*sg1*VW + vc1

/* Fix for UseInitialStridesCD, emitAddressSetupCode */
_v_add_u32 v2, v2, s[sgprStrideC1J]                // ROWINC- Move cinRowPtr to next row
_v_add_u32 v3, v3, s[sgprStrideD1J]                // Move coutRowPtr to next row
v_cmp_lt_u32 s[52:53], v0, s[sgprSizeI]            // coord0 < size0
v_cmp_lt_u32 s[56:57], v1, s[sgprSizeJ]            // coord1 < size1
s_and_b64 s[56:57], s[52:53], s[56:57]             // in0 && in1
_v_add_lshl_u32 v22, v3, v0, 0x1                   // scaleToBpe: accumulate d0 lower and *= bpe into Cin addr
v_cndmask_b32 v22, -1, v22, s[56:57]               // LDD clip if OOB. offset
/* (d1,vc1,d0,vc0)=(0,1,1,0) */
_v_add_co_u32 v4, vcc, v0, 64                      // coord0.1: coord0 += d0*sg0*VW + vc0
v_cmp_lt_u32 s[52:53], v4, s[sgprSizeI]            // coord0 < size0
v_cmp_lt_u32 s[56:57], v1, s[sgprSizeJ]            // coord1 < size1
s_and_b64 s[56:57], s[52:53], s[56:57]             // in0 && in1
_v_add_lshl_u32 v23, v3, v4, 0x1                   // scaleToBpe: accumulate d0 lower and *= bpe into Cin addr
v_cndmask_b32 v23, -1, v23, s[56:57]               // LDD clip if OOB. offset
/* (d1,vc1,d0,vc0)=(0,1,2,0) */
s_mov_b32 s52, 128                                 // coordOffset0 d0=2 vc0=0
_v_add_co_u32 v4, vcc, v0, s52                     // coord0.2: coord0 += d0*sg0*VW + vc0
v_cmp_lt_u32 s[52:53], v4, s[sgprSizeI]            // coord0 < size0
v_cmp_lt_u32 s[56:57], v1, s[sgprSizeJ]            // coord1 < size1
s_and_b64 s[56:57], s[52:53], s[56:57]             // in0 && in1
_v_add_lshl_u32 v28, v3, v4, 0x1                   // scaleToBpe: accumulate d0 lower and *= bpe into Cin addr
v_cndmask_b32 v28, -1, v28, s[56:57]               // LDD clip if OOB. offset
/* (d1,vc1,d0,vc0)=(0,1,3,0) */
s_mov_b32 s52, 192                                 // coordOffset0 d0=3 vc0=0
_v_add_co_u32 v4, vcc, v0, s52                     // coord0.2: coord0 += d0*sg0*VW + vc0
v_cmp_lt_u32 s[52:53], v4, s[sgprSizeI]            // coord0 < size0
v_cmp_lt_u32 s[56:57], v1, s[sgprSizeJ]            // coord1 < size1
s_and_b64 s[56:57], s[52:53], s[56:57]             // in0 && in1
_v_add_lshl_u32 v29, v3, v4, 0x1                   // scaleToBpe: accumulate d0 lower and *= bpe into Cin addr
v_cndmask_b32 v29, -1, v29, s[56:57]               // LDD clip if OOB. offset
/* (d1,vc1,d0,vc0)=(0,2,0,0) */
_v_add_co_u32 v1, vcc, v1, 1                       // coord1.1: coord1Vgpr += d1*sg1*VW + vc1

/* Fix for UseInitialStridesCD, emitAddressSetupCode */
_v_add_u32 v2, v2, s[sgprStrideC1J]                // ROWINC- Move cinRowPtr to next row
_v_add_u32 v3, v3, s[sgprStrideD1J]                // Move coutRowPtr to next row
	;; [unrolled: 34-line block ×3, first 2 shown]
v_cmp_lt_u32 s[52:53], v0, s[sgprSizeI]            // coord0 < size0
v_cmp_lt_u32 s[56:57], v1, s[sgprSizeJ]            // coord1 < size1
s_and_b64 s[56:57], s[52:53], s[56:57]             // in0 && in1
_v_add_lshl_u32 v46, v3, v0, 0x1                   // scaleToBpe: accumulate d0 lower and *= bpe into Cin addr
v_cndmask_b32 v46, -1, v46, s[56:57]               // LDD clip if OOB. offset
/* (d1,vc1,d0,vc0)=(0,3,1,0) */
_v_add_co_u32 v4, vcc, v0, 64                      // coord0.1: coord0 += d0*sg0*VW + vc0
v_cmp_lt_u32 s[52:53], v4, s[sgprSizeI]            // coord0 < size0
v_cmp_lt_u32 s[56:57], v1, s[sgprSizeJ]            // coord1 < size1
s_and_b64 s[56:57], s[52:53], s[56:57]             // in0 && in1
_v_add_lshl_u32 v47, v3, v4, 0x1                   // scaleToBpe: accumulate d0 lower and *= bpe into Cin addr
v_cndmask_b32 v47, -1, v47, s[56:57]               // LDD clip if OOB. offset
/* (d1,vc1,d0,vc0)=(0,3,2,0) */
s_mov_b32 s52, 128                                 // coordOffset0 d0=2 vc0=0
_v_add_co_u32 v4, vcc, v0, s52                     // coord0.2: coord0 += d0*sg0*VW + vc0
v_cmp_lt_u32 s[52:53], v4, s[sgprSizeI]            // coord0 < size0
v_cmp_lt_u32 s[56:57], v1, s[sgprSizeJ]            // coord1 < size1
s_and_b64 s[56:57], s[52:53], s[56:57]             // in0 && in1
_v_add_lshl_u32 v52, v3, v4, 0x1                   // scaleToBpe: accumulate d0 lower and *= bpe into Cin addr
v_cndmask_b32 v52, -1, v52, s[56:57]               // LDD clip if OOB. offset
/* (d1,vc1,d0,vc0)=(0,3,3,0) */
s_mov_b32 s52, 192                                 // coordOffset0 d0=3 vc0=0
_v_add_co_u32 v4, vcc, v0, s52                     // coord0.2: coord0 += d0*sg0*VW + vc0
v_cmp_lt_u32 s[52:53], v4, s[sgprSizeI]            // coord0 < size0
v_cmp_lt_u32 s[56:57], v1, s[sgprSizeJ]            // coord1 < size1
s_and_b64 s[56:57], s[52:53], s[56:57]             // in0 && in1
_v_add_lshl_u32 v53, v3, v4, 0x1                   // scaleToBpe: accumulate d0 lower and *= bpe into Cin addr
v_cndmask_b32 v53, -1, v53, s[56:57]               // LDD clip if OOB. offset
/* (d1,vc1,d0,vc0)=(1,0,0,0) */
_v_add_co_u32 v1, vcc, v1, 29                      // coord1.1: coord1Vgpr += d1*sg1*VW + vc1

/* Fix for UseInitialStridesCD, emitAddressSetupCode */
s_mul_i32 s52, s[sgprStrideC1J], 29                // scale stride
_v_add_u32 v2, v2, s52                             // ROWINC- Move cinRowPtr to next row
s_mul_i32 s52, s[sgprStrideD1J], 29                // scale stride
_v_add_u32 v3, v3, s52                             // Move coutRowPtr to next row
v_cmp_lt_u32 s[52:53], v0, s[sgprSizeI]            // coord0 < size0
v_cmp_lt_u32 s[56:57], v1, s[sgprSizeJ]            // coord1 < size1
s_and_b64 s[56:57], s[52:53], s[56:57]             // in0 && in1
_v_add_lshl_u32 v58, v3, v0, 0x1                   // scaleToBpe: accumulate d0 lower and *= bpe into Cin addr
v_cndmask_b32 v58, -1, v58, s[56:57]               // LDD clip if OOB. offset
/* (d1,vc1,d0,vc0)=(1,0,1,0) */
_v_add_co_u32 v4, vcc, v0, 64                      // coord0.1: coord0 += d0*sg0*VW + vc0
v_cmp_lt_u32 s[52:53], v4, s[sgprSizeI]            // coord0 < size0
v_cmp_lt_u32 s[56:57], v1, s[sgprSizeJ]            // coord1 < size1
s_and_b64 s[56:57], s[52:53], s[56:57]             // in0 && in1
_v_add_lshl_u32 v59, v3, v4, 0x1                   // scaleToBpe: accumulate d0 lower and *= bpe into Cin addr
v_cndmask_b32 v59, -1, v59, s[56:57]               // LDD clip if OOB. offset
/* (d1,vc1,d0,vc0)=(1,0,2,0) */
s_mov_b32 s52, 128                                 // coordOffset0 d0=2 vc0=0
_v_add_co_u32 v4, vcc, v0, s52                     // coord0.2: coord0 += d0*sg0*VW + vc0
v_cmp_lt_u32 s[52:53], v4, s[sgprSizeI]            // coord0 < size0
v_cmp_lt_u32 s[56:57], v1, s[sgprSizeJ]            // coord1 < size1
s_and_b64 s[56:57], s[52:53], s[56:57]             // in0 && in1
_v_add_lshl_u32 v64, v3, v4, 0x1                   // scaleToBpe: accumulate d0 lower and *= bpe into Cin addr
v_cndmask_b32 v64, -1, v64, s[56:57]               // LDD clip if OOB. offset
/* (d1,vc1,d0,vc0)=(1,0,3,0) */
s_mov_b32 s52, 192                                 // coordOffset0 d0=3 vc0=0
_v_add_co_u32 v4, vcc, v0, s52                     // coord0.2: coord0 += d0*sg0*VW + vc0
v_cmp_lt_u32 s[52:53], v4, s[sgprSizeI]            // coord0 < size0
v_cmp_lt_u32 s[56:57], v1, s[sgprSizeJ]            // coord1 < size1
s_and_b64 s[56:57], s[52:53], s[56:57]             // in0 && in1
_v_add_lshl_u32 v65, v3, v4, 0x1                   // scaleToBpe: accumulate d0 lower and *= bpe into Cin addr
v_cndmask_b32 v65, -1, v65, s[56:57]               // LDD clip if OOB. offset
/* (d1,vc1,d0,vc0)=(1,1,0,0) */
_v_add_co_u32 v1, vcc, v1, 1                       // coord1.1: coord1Vgpr += d1*sg1*VW + vc1

/* Fix for UseInitialStridesCD, emitAddressSetupCode */
_v_add_u32 v2, v2, s[sgprStrideC1J]                // ROWINC- Move cinRowPtr to next row
_v_add_u32 v3, v3, s[sgprStrideD1J]                // Move coutRowPtr to next row
v_cmp_lt_u32 s[52:53], v0, s[sgprSizeI]            // coord0 < size0
v_cmp_lt_u32 s[56:57], v1, s[sgprSizeJ]            // coord1 < size1
s_and_b64 s[56:57], s[52:53], s[56:57]             // in0 && in1
_v_add_lshl_u32 v70, v3, v0, 0x1                   // scaleToBpe: accumulate d0 lower and *= bpe into Cin addr
v_cndmask_b32 v70, -1, v70, s[56:57]               // LDD clip if OOB. offset
/* (d1,vc1,d0,vc0)=(1,1,1,0) */
_v_add_co_u32 v4, vcc, v0, 64                      // coord0.1: coord0 += d0*sg0*VW + vc0
v_cmp_lt_u32 s[52:53], v4, s[sgprSizeI]            // coord0 < size0
v_cmp_lt_u32 s[56:57], v1, s[sgprSizeJ]            // coord1 < size1
s_and_b64 s[56:57], s[52:53], s[56:57]             // in0 && in1
_v_add_lshl_u32 v71, v3, v4, 0x1                   // scaleToBpe: accumulate d0 lower and *= bpe into Cin addr
v_cndmask_b32 v71, -1, v71, s[56:57]               // LDD clip if OOB. offset
/* (d1,vc1,d0,vc0)=(1,1,2,0) */
s_mov_b32 s52, 128                                 // coordOffset0 d0=2 vc0=0
_v_add_co_u32 v4, vcc, v0, s52                     // coord0.2: coord0 += d0*sg0*VW + vc0
v_cmp_lt_u32 s[52:53], v4, s[sgprSizeI]            // coord0 < size0
v_cmp_lt_u32 s[56:57], v1, s[sgprSizeJ]            // coord1 < size1
s_and_b64 s[56:57], s[52:53], s[56:57]             // in0 && in1
_v_add_lshl_u32 v76, v3, v4, 0x1                   // scaleToBpe: accumulate d0 lower and *= bpe into Cin addr
v_cndmask_b32 v76, -1, v76, s[56:57]               // LDD clip if OOB. offset
/* (d1,vc1,d0,vc0)=(1,1,3,0) */
s_mov_b32 s52, 192                                 // coordOffset0 d0=3 vc0=0
_v_add_co_u32 v4, vcc, v0, s52                     // coord0.2: coord0 += d0*sg0*VW + vc0
v_cmp_lt_u32 s[52:53], v4, s[sgprSizeI]            // coord0 < size0
v_cmp_lt_u32 s[56:57], v1, s[sgprSizeJ]            // coord1 < size1
s_and_b64 s[56:57], s[52:53], s[56:57]             // in0 && in1
_v_add_lshl_u32 v77, v3, v4, 0x1                   // scaleToBpe: accumulate d0 lower and *= bpe into Cin addr
v_cndmask_b32 v77, -1, v77, s[56:57]               // LDD clip if OOB. offset
/* (d1,vc1,d0,vc0)=(1,2,0,0) */
_v_add_co_u32 v1, vcc, v1, 1                       // coord1.1: coord1Vgpr += d1*sg1*VW + vc1

/* Fix for UseInitialStridesCD, emitAddressSetupCode */
_v_add_u32 v2, v2, s[sgprStrideC1J]                // ROWINC- Move cinRowPtr to next row
_v_add_u32 v3, v3, s[sgprStrideD1J]                // Move coutRowPtr to next row
	;; [unrolled: 34-line block ×3, first 2 shown]
v_cmp_lt_u32 s[52:53], v0, s[sgprSizeI]            // coord0 < size0
v_cmp_lt_u32 s[56:57], v1, s[sgprSizeJ]            // coord1 < size1
s_and_b64 s[56:57], s[52:53], s[56:57]             // in0 && in1
_v_add_lshl_u32 v94, v3, v0, 0x1                   // scaleToBpe: accumulate d0 lower and *= bpe into Cin addr
v_cndmask_b32 v94, -1, v94, s[56:57]               // LDD clip if OOB. offset
/* (d1,vc1,d0,vc0)=(1,3,1,0) */
_v_add_co_u32 v4, vcc, v0, 64                      // coord0.1: coord0 += d0*sg0*VW + vc0
v_cmp_lt_u32 s[52:53], v4, s[sgprSizeI]            // coord0 < size0
v_cmp_lt_u32 s[56:57], v1, s[sgprSizeJ]            // coord1 < size1
s_and_b64 s[56:57], s[52:53], s[56:57]             // in0 && in1
_v_add_lshl_u32 v95, v3, v4, 0x1                   // scaleToBpe: accumulate d0 lower and *= bpe into Cin addr
v_cndmask_b32 v95, -1, v95, s[56:57]               // LDD clip if OOB. offset
/* (d1,vc1,d0,vc0)=(1,3,2,0) */
s_mov_b32 s52, 128                                 // coordOffset0 d0=2 vc0=0
_v_add_co_u32 v4, vcc, v0, s52                     // coord0.2: coord0 += d0*sg0*VW + vc0
v_cmp_lt_u32 s[52:53], v4, s[sgprSizeI]            // coord0 < size0
v_cmp_lt_u32 s[56:57], v1, s[sgprSizeJ]            // coord1 < size1
s_and_b64 s[56:57], s[52:53], s[56:57]             // in0 && in1
_v_add_lshl_u32 v100, v3, v4, 0x1                  // scaleToBpe: accumulate d0 lower and *= bpe into Cin addr
v_cndmask_b32 v100, -1, v100, s[56:57]             // LDD clip if OOB. offset
/* (d1,vc1,d0,vc0)=(1,3,3,0) */
s_mov_b32 s52, 192                                 // coordOffset0 d0=3 vc0=0
_v_add_co_u32 v4, vcc, v0, s52                     // coord0.2: coord0 += d0*sg0*VW + vc0
v_cmp_lt_u32 s[52:53], v4, s[sgprSizeI]            // coord0 < size0
v_cmp_lt_u32 s[56:57], v1, s[sgprSizeJ]            // coord1 < size1
s_and_b64 s[56:57], s[52:53], s[56:57]             // in0 && in1
_v_add_lshl_u32 v101, v3, v4, 0x1                  // scaleToBpe: accumulate d0 lower and *= bpe into Cin addr
v_cndmask_b32 v101, -1, v101, s[56:57]             // LDD clip if OOB. offset
/* (d1,vc1,d0,vc0)=(2,0,0,0) */
_v_add_co_u32 v1, vcc, v1, 29                      // coord1.1: coord1Vgpr += d1*sg1*VW + vc1

/* Fix for UseInitialStridesCD, emitAddressSetupCode */
s_mul_i32 s52, s[sgprStrideC1J], 29                // scale stride
_v_add_u32 v2, v2, s52                             // ROWINC- Move cinRowPtr to next row
s_mul_i32 s52, s[sgprStrideD1J], 29                // scale stride
_v_add_u32 v3, v3, s52                             // Move coutRowPtr to next row
v_cmp_lt_u32 s[52:53], v0, s[sgprSizeI]            // coord0 < size0
v_cmp_lt_u32 s[56:57], v1, s[sgprSizeJ]            // coord1 < size1
s_and_b64 s[56:57], s[52:53], s[56:57]             // in0 && in1
_v_add_lshl_u32 v106, v3, v0, 0x1                  // scaleToBpe: accumulate d0 lower and *= bpe into Cin addr
v_cndmask_b32 v106, -1, v106, s[56:57]             // LDD clip if OOB. offset
/* (d1,vc1,d0,vc0)=(2,0,1,0) */
_v_add_co_u32 v4, vcc, v0, 64                      // coord0.1: coord0 += d0*sg0*VW + vc0
v_cmp_lt_u32 s[52:53], v4, s[sgprSizeI]            // coord0 < size0
v_cmp_lt_u32 s[56:57], v1, s[sgprSizeJ]            // coord1 < size1
s_and_b64 s[56:57], s[52:53], s[56:57]             // in0 && in1
_v_add_lshl_u32 v107, v3, v4, 0x1                  // scaleToBpe: accumulate d0 lower and *= bpe into Cin addr
v_cndmask_b32 v107, -1, v107, s[56:57]             // LDD clip if OOB. offset
/* (d1,vc1,d0,vc0)=(2,0,2,0) */
s_mov_b32 s52, 128                                 // coordOffset0 d0=2 vc0=0
_v_add_co_u32 v4, vcc, v0, s52                     // coord0.2: coord0 += d0*sg0*VW + vc0
v_cmp_lt_u32 s[52:53], v4, s[sgprSizeI]            // coord0 < size0
v_cmp_lt_u32 s[56:57], v1, s[sgprSizeJ]            // coord1 < size1
s_and_b64 s[56:57], s[52:53], s[56:57]             // in0 && in1
_v_add_lshl_u32 v112, v3, v4, 0x1                  // scaleToBpe: accumulate d0 lower and *= bpe into Cin addr
v_cndmask_b32 v112, -1, v112, s[56:57]             // LDD clip if OOB. offset
/* (d1,vc1,d0,vc0)=(2,0,3,0) */
s_mov_b32 s52, 192                                 // coordOffset0 d0=3 vc0=0
_v_add_co_u32 v4, vcc, v0, s52                     // coord0.2: coord0 += d0*sg0*VW + vc0
v_cmp_lt_u32 s[52:53], v4, s[sgprSizeI]            // coord0 < size0
v_cmp_lt_u32 s[56:57], v1, s[sgprSizeJ]            // coord1 < size1
s_and_b64 s[56:57], s[52:53], s[56:57]             // in0 && in1
_v_add_lshl_u32 v113, v3, v4, 0x1                  // scaleToBpe: accumulate d0 lower and *= bpe into Cin addr
v_cndmask_b32 v113, -1, v113, s[56:57]             // LDD clip if OOB. offset
/* (d1,vc1,d0,vc0)=(2,1,0,0) */
_v_add_co_u32 v1, vcc, v1, 1                       // coord1.1: coord1Vgpr += d1*sg1*VW + vc1

/* Fix for UseInitialStridesCD, emitAddressSetupCode */
_v_add_u32 v2, v2, s[sgprStrideC1J]                // ROWINC- Move cinRowPtr to next row
_v_add_u32 v3, v3, s[sgprStrideD1J]                // Move coutRowPtr to next row
v_cmp_lt_u32 s[52:53], v0, s[sgprSizeI]            // coord0 < size0
v_cmp_lt_u32 s[56:57], v1, s[sgprSizeJ]            // coord1 < size1
s_and_b64 s[56:57], s[52:53], s[56:57]             // in0 && in1
_v_add_lshl_u32 v118, v3, v0, 0x1                  // scaleToBpe: accumulate d0 lower and *= bpe into Cin addr
v_cndmask_b32 v118, -1, v118, s[56:57]             // LDD clip if OOB. offset
/* (d1,vc1,d0,vc0)=(2,1,1,0) */
_v_add_co_u32 v4, vcc, v0, 64                      // coord0.1: coord0 += d0*sg0*VW + vc0
v_cmp_lt_u32 s[52:53], v4, s[sgprSizeI]            // coord0 < size0
v_cmp_lt_u32 s[56:57], v1, s[sgprSizeJ]            // coord1 < size1
s_and_b64 s[56:57], s[52:53], s[56:57]             // in0 && in1
_v_add_lshl_u32 v119, v3, v4, 0x1                  // scaleToBpe: accumulate d0 lower and *= bpe into Cin addr
v_cndmask_b32 v119, -1, v119, s[56:57]             // LDD clip if OOB. offset
/* (d1,vc1,d0,vc0)=(2,1,2,0) */
s_mov_b32 s52, 128                                 // coordOffset0 d0=2 vc0=0
_v_add_co_u32 v4, vcc, v0, s52                     // coord0.2: coord0 += d0*sg0*VW + vc0
v_cmp_lt_u32 s[52:53], v4, s[sgprSizeI]            // coord0 < size0
v_cmp_lt_u32 s[56:57], v1, s[sgprSizeJ]            // coord1 < size1
s_and_b64 s[56:57], s[52:53], s[56:57]             // in0 && in1
_v_add_lshl_u32 v124, v3, v4, 0x1                  // scaleToBpe: accumulate d0 lower and *= bpe into Cin addr
v_cndmask_b32 v124, -1, v124, s[56:57]             // LDD clip if OOB. offset
/* (d1,vc1,d0,vc0)=(2,1,3,0) */
s_mov_b32 s52, 192                                 // coordOffset0 d0=3 vc0=0
_v_add_co_u32 v4, vcc, v0, s52                     // coord0.2: coord0 += d0*sg0*VW + vc0
v_cmp_lt_u32 s[52:53], v4, s[sgprSizeI]            // coord0 < size0
v_cmp_lt_u32 s[56:57], v1, s[sgprSizeJ]            // coord1 < size1
s_and_b64 s[56:57], s[52:53], s[56:57]             // in0 && in1
_v_add_lshl_u32 v125, v3, v4, 0x1                  // scaleToBpe: accumulate d0 lower and *= bpe into Cin addr
v_cndmask_b32 v125, -1, v125, s[56:57]             // LDD clip if OOB. offset
/* (d1,vc1,d0,vc0)=(2,2,0,0) */
_v_add_co_u32 v1, vcc, v1, 1                       // coord1.1: coord1Vgpr += d1*sg1*VW + vc1

/* Fix for UseInitialStridesCD, emitAddressSetupCode */
_v_add_u32 v2, v2, s[sgprStrideC1J]                // ROWINC- Move cinRowPtr to next row
_v_add_u32 v3, v3, s[sgprStrideD1J]                // Move coutRowPtr to next row
	;; [unrolled: 34-line block ×3, first 2 shown]
v_cmp_lt_u32 s[52:53], v0, s[sgprSizeI]            // coord0 < size0
v_cmp_lt_u32 s[56:57], v1, s[sgprSizeJ]            // coord1 < size1
s_and_b64 s[56:57], s[52:53], s[56:57]             // in0 && in1
_v_add_lshl_u32 v142, v3, v0, 0x1                  // scaleToBpe: accumulate d0 lower and *= bpe into Cin addr
v_cndmask_b32 v142, -1, v142, s[56:57]             // LDD clip if OOB. offset
/* (d1,vc1,d0,vc0)=(2,3,1,0) */
_v_add_co_u32 v4, vcc, v0, 64                      // coord0.1: coord0 += d0*sg0*VW + vc0
v_cmp_lt_u32 s[52:53], v4, s[sgprSizeI]            // coord0 < size0
v_cmp_lt_u32 s[56:57], v1, s[sgprSizeJ]            // coord1 < size1
s_and_b64 s[56:57], s[52:53], s[56:57]             // in0 && in1
_v_add_lshl_u32 v143, v3, v4, 0x1                  // scaleToBpe: accumulate d0 lower and *= bpe into Cin addr
v_cndmask_b32 v143, -1, v143, s[56:57]             // LDD clip if OOB. offset
/* (d1,vc1,d0,vc0)=(2,3,2,0) */
s_mov_b32 s52, 128                                 // coordOffset0 d0=2 vc0=0
_v_add_co_u32 v4, vcc, v0, s52                     // coord0.2: coord0 += d0*sg0*VW + vc0
v_cmp_lt_u32 s[52:53], v4, s[sgprSizeI]            // coord0 < size0
v_cmp_lt_u32 s[56:57], v1, s[sgprSizeJ]            // coord1 < size1
s_and_b64 s[56:57], s[52:53], s[56:57]             // in0 && in1
_v_add_lshl_u32 v151, v3, v4, 0x1                  // scaleToBpe: accumulate d0 lower and *= bpe into Cin addr
v_cndmask_b32 v151, -1, v151, s[56:57]             // LDD clip if OOB. offset
/* (d1,vc1,d0,vc0)=(2,3,3,0) */
s_mov_b32 s52, 192                                 // coordOffset0 d0=3 vc0=0
_v_add_co_u32 v4, vcc, v0, s52                     // coord0.2: coord0 += d0*sg0*VW + vc0
v_cmp_lt_u32 s[52:53], v4, s[sgprSizeI]            // coord0 < size0
v_cmp_lt_u32 s[56:57], v1, s[sgprSizeJ]            // coord1 < size1
s_and_b64 s[56:57], s[52:53], s[56:57]             // in0 && in1
_v_add_lshl_u32 v154, v3, v4, 0x1                  // scaleToBpe: accumulate d0 lower and *= bpe into Cin addr
v_cndmask_b32 v154, -1, v154, s[56:57]             // LDD clip if OOB. offset
/* (d1,vc1,d0,vc0)=(3,0,0,0) */
_v_add_co_u32 v1, vcc, v1, 29                      // coord1.1: coord1Vgpr += d1*sg1*VW + vc1

/* Fix for UseInitialStridesCD, emitAddressSetupCode */
s_mul_i32 s52, s[sgprStrideC1J], 29                // scale stride
_v_add_u32 v2, v2, s52                             // ROWINC- Move cinRowPtr to next row
s_mul_i32 s52, s[sgprStrideD1J], 29                // scale stride
_v_add_u32 v3, v3, s52                             // Move coutRowPtr to next row
v_cmp_lt_u32 s[52:53], v0, s[sgprSizeI]            // coord0 < size0
v_cmp_lt_u32 s[56:57], v1, s[sgprSizeJ]            // coord1 < size1
s_and_b64 s[56:57], s[52:53], s[56:57]             // in0 && in1
_v_add_lshl_u32 v155, v3, v0, 0x1                  // scaleToBpe: accumulate d0 lower and *= bpe into Cin addr
v_cndmask_b32 v155, -1, v155, s[56:57]             // LDD clip if OOB. offset
/* (d1,vc1,d0,vc0)=(3,0,1,0) */
_v_add_co_u32 v4, vcc, v0, 64                      // coord0.1: coord0 += d0*sg0*VW + vc0
v_cmp_lt_u32 s[52:53], v4, s[sgprSizeI]            // coord0 < size0
v_cmp_lt_u32 s[56:57], v1, s[sgprSizeJ]            // coord1 < size1
s_and_b64 s[56:57], s[52:53], s[56:57]             // in0 && in1
_v_add_lshl_u32 v160, v3, v4, 0x1                  // scaleToBpe: accumulate d0 lower and *= bpe into Cin addr
v_cndmask_b32 v160, -1, v160, s[56:57]             // LDD clip if OOB. offset
/* (d1,vc1,d0,vc0)=(3,0,2,0) */
s_mov_b32 s52, 128                                 // coordOffset0 d0=2 vc0=0
_v_add_co_u32 v4, vcc, v0, s52                     // coord0.2: coord0 += d0*sg0*VW + vc0
v_cmp_lt_u32 s[52:53], v4, s[sgprSizeI]            // coord0 < size0
v_cmp_lt_u32 s[56:57], v1, s[sgprSizeJ]            // coord1 < size1
s_and_b64 s[56:57], s[52:53], s[56:57]             // in0 && in1
_v_add_lshl_u32 v161, v3, v4, 0x1                  // scaleToBpe: accumulate d0 lower and *= bpe into Cin addr
v_cndmask_b32 v161, -1, v161, s[56:57]             // LDD clip if OOB. offset
/* (d1,vc1,d0,vc0)=(3,0,3,0) */
s_mov_b32 s52, 192                                 // coordOffset0 d0=3 vc0=0
_v_add_co_u32 v4, vcc, v0, s52                     // coord0.2: coord0 += d0*sg0*VW + vc0
v_cmp_lt_u32 s[52:53], v4, s[sgprSizeI]            // coord0 < size0
v_cmp_lt_u32 s[56:57], v1, s[sgprSizeJ]            // coord1 < size1
s_and_b64 s[56:57], s[52:53], s[56:57]             // in0 && in1
_v_add_lshl_u32 v166, v3, v4, 0x1                  // scaleToBpe: accumulate d0 lower and *= bpe into Cin addr
v_cndmask_b32 v166, -1, v166, s[56:57]             // LDD clip if OOB. offset
/* (d1,vc1,d0,vc0)=(3,1,0,0) */
_v_add_co_u32 v1, vcc, v1, 1                       // coord1.1: coord1Vgpr += d1*sg1*VW + vc1

/* Fix for UseInitialStridesCD, emitAddressSetupCode */
_v_add_u32 v2, v2, s[sgprStrideC1J]                // ROWINC- Move cinRowPtr to next row
_v_add_u32 v3, v3, s[sgprStrideD1J]                // Move coutRowPtr to next row
v_cmp_lt_u32 s[52:53], v0, s[sgprSizeI]            // coord0 < size0
v_cmp_lt_u32 s[56:57], v1, s[sgprSizeJ]            // coord1 < size1
s_and_b64 s[56:57], s[52:53], s[56:57]             // in0 && in1
_v_add_lshl_u32 v167, v3, v0, 0x1                  // scaleToBpe: accumulate d0 lower and *= bpe into Cin addr
v_cndmask_b32 v167, -1, v167, s[56:57]             // LDD clip if OOB. offset
/* (d1,vc1,d0,vc0)=(3,1,1,0) */
_v_add_co_u32 v4, vcc, v0, 64                      // coord0.1: coord0 += d0*sg0*VW + vc0
v_cmp_lt_u32 s[52:53], v4, s[sgprSizeI]            // coord0 < size0
v_cmp_lt_u32 s[56:57], v1, s[sgprSizeJ]            // coord1 < size1
s_and_b64 s[56:57], s[52:53], s[56:57]             // in0 && in1
_v_add_lshl_u32 v172, v3, v4, 0x1                  // scaleToBpe: accumulate d0 lower and *= bpe into Cin addr
v_cndmask_b32 v172, -1, v172, s[56:57]             // LDD clip if OOB. offset
/* (d1,vc1,d0,vc0)=(3,1,2,0) */
s_mov_b32 s52, 128                                 // coordOffset0 d0=2 vc0=0
_v_add_co_u32 v4, vcc, v0, s52                     // coord0.2: coord0 += d0*sg0*VW + vc0
v_cmp_lt_u32 s[52:53], v4, s[sgprSizeI]            // coord0 < size0
v_cmp_lt_u32 s[56:57], v1, s[sgprSizeJ]            // coord1 < size1
s_and_b64 s[56:57], s[52:53], s[56:57]             // in0 && in1
_v_add_lshl_u32 v173, v3, v4, 0x1                  // scaleToBpe: accumulate d0 lower and *= bpe into Cin addr
v_cndmask_b32 v173, -1, v173, s[56:57]             // LDD clip if OOB. offset
/* (d1,vc1,d0,vc0)=(3,1,3,0) */
s_mov_b32 s52, 192                                 // coordOffset0 d0=3 vc0=0
_v_add_co_u32 v4, vcc, v0, s52                     // coord0.2: coord0 += d0*sg0*VW + vc0
v_cmp_lt_u32 s[52:53], v4, s[sgprSizeI]            // coord0 < size0
v_cmp_lt_u32 s[56:57], v1, s[sgprSizeJ]            // coord1 < size1
s_and_b64 s[56:57], s[52:53], s[56:57]             // in0 && in1
_v_add_lshl_u32 v178, v3, v4, 0x1                  // scaleToBpe: accumulate d0 lower and *= bpe into Cin addr
v_cndmask_b32 v178, -1, v178, s[56:57]             // LDD clip if OOB. offset
/* (d1,vc1,d0,vc0)=(3,2,0,0) */
_v_add_co_u32 v1, vcc, v1, 1                       // coord1.1: coord1Vgpr += d1*sg1*VW + vc1

/* Fix for UseInitialStridesCD, emitAddressSetupCode */
_v_add_u32 v2, v2, s[sgprStrideC1J]                // ROWINC- Move cinRowPtr to next row
_v_add_u32 v3, v3, s[sgprStrideD1J]                // Move coutRowPtr to next row
	;; [unrolled: 34-line block ×3, first 2 shown]
v_cmp_lt_u32 s[52:53], v0, s[sgprSizeI]            // coord0 < size0
v_cmp_lt_u32 s[56:57], v1, s[sgprSizeJ]            // coord1 < size1
s_and_b64 s[56:57], s[52:53], s[56:57]             // in0 && in1
_v_add_lshl_u32 v191, v3, v0, 0x1                  // scaleToBpe: accumulate d0 lower and *= bpe into Cin addr
v_cndmask_b32 v191, -1, v191, s[56:57]             // LDD clip if OOB. offset
/* (d1,vc1,d0,vc0)=(3,3,1,0) */
_v_add_co_u32 v4, vcc, v0, 64                      // coord0.1: coord0 += d0*sg0*VW + vc0
v_cmp_lt_u32 s[52:53], v4, s[sgprSizeI]            // coord0 < size0
v_cmp_lt_u32 s[56:57], v1, s[sgprSizeJ]            // coord1 < size1
s_and_b64 s[56:57], s[52:53], s[56:57]             // in0 && in1
_v_add_lshl_u32 v196, v3, v4, 0x1                  // scaleToBpe: accumulate d0 lower and *= bpe into Cin addr
v_cndmask_b32 v196, -1, v196, s[56:57]             // LDD clip if OOB. offset
/* (d1,vc1,d0,vc0)=(3,3,2,0) */
s_mov_b32 s52, 128                                 // coordOffset0 d0=2 vc0=0
_v_add_co_u32 v4, vcc, v0, s52                     // coord0.2: coord0 += d0*sg0*VW + vc0
v_cmp_lt_u32 s[52:53], v4, s[sgprSizeI]            // coord0 < size0
v_cmp_lt_u32 s[56:57], v1, s[sgprSizeJ]            // coord1 < size1
s_and_b64 s[56:57], s[52:53], s[56:57]             // in0 && in1
_v_add_lshl_u32 v197, v3, v4, 0x1                  // scaleToBpe: accumulate d0 lower and *= bpe into Cin addr
v_cndmask_b32 v197, -1, v197, s[56:57]             // LDD clip if OOB. offset
/* (d1,vc1,d0,vc0)=(3,3,3,0) */
s_mov_b32 s52, 192                                 // coordOffset0 d0=3 vc0=0
_v_add_co_u32 v4, vcc, v0, s52                     // coord0.2: coord0 += d0*sg0*VW + vc0
v_cmp_lt_u32 s[52:53], v4, s[sgprSizeI]            // coord0 < size0
v_cmp_lt_u32 s[56:57], v1, s[sgprSizeJ]            // coord1 < size1
s_and_b64 s[56:57], s[52:53], s[56:57]             // in0 && in1
_v_add_lshl_u32 v202, v3, v4, 0x1                  // scaleToBpe: accumulate d0 lower and *= bpe into Cin addr
v_cndmask_b32 v202, -1, v202, s[56:57]             // LDD clip if OOB. offset
/* (d1,vc1,d0,vc0)=(4,0,0,0) */
_v_add_co_u32 v1, vcc, v1, 29                      // coord1.1: coord1Vgpr += d1*sg1*VW + vc1

/* Fix for UseInitialStridesCD, emitAddressSetupCode */
s_mul_i32 s52, s[sgprStrideC1J], 29                // scale stride
_v_add_u32 v2, v2, s52                             // ROWINC- Move cinRowPtr to next row
s_mul_i32 s52, s[sgprStrideD1J], 29                // scale stride
_v_add_u32 v3, v3, s52                             // Move coutRowPtr to next row
v_cmp_lt_u32 s[52:53], v0, s[sgprSizeI]            // coord0 < size0
v_cmp_lt_u32 s[56:57], v1, s[sgprSizeJ]            // coord1 < size1
s_and_b64 s[56:57], s[52:53], s[56:57]             // in0 && in1
_v_add_lshl_u32 v203, v3, v0, 0x1                  // scaleToBpe: accumulate d0 lower and *= bpe into Cin addr
v_cndmask_b32 v203, -1, v203, s[56:57]             // LDD clip if OOB. offset
/* (d1,vc1,d0,vc0)=(4,0,1,0) */
_v_add_co_u32 v4, vcc, v0, 64                      // coord0.1: coord0 += d0*sg0*VW + vc0
v_cmp_lt_u32 s[52:53], v4, s[sgprSizeI]            // coord0 < size0
v_cmp_lt_u32 s[56:57], v1, s[sgprSizeJ]            // coord1 < size1
s_and_b64 s[56:57], s[52:53], s[56:57]             // in0 && in1
_v_add_lshl_u32 v208, v3, v4, 0x1                  // scaleToBpe: accumulate d0 lower and *= bpe into Cin addr
v_cndmask_b32 v208, -1, v208, s[56:57]             // LDD clip if OOB. offset
/* (d1,vc1,d0,vc0)=(4,0,2,0) */
s_mov_b32 s52, 128                                 // coordOffset0 d0=2 vc0=0
_v_add_co_u32 v4, vcc, v0, s52                     // coord0.2: coord0 += d0*sg0*VW + vc0
v_cmp_lt_u32 s[52:53], v4, s[sgprSizeI]            // coord0 < size0
v_cmp_lt_u32 s[56:57], v1, s[sgprSizeJ]            // coord1 < size1
s_and_b64 s[56:57], s[52:53], s[56:57]             // in0 && in1
_v_add_lshl_u32 v209, v3, v4, 0x1                  // scaleToBpe: accumulate d0 lower and *= bpe into Cin addr
v_cndmask_b32 v209, -1, v209, s[56:57]             // LDD clip if OOB. offset
/* (d1,vc1,d0,vc0)=(4,0,3,0) */
s_mov_b32 s52, 192                                 // coordOffset0 d0=3 vc0=0
_v_add_co_u32 v4, vcc, v0, s52                     // coord0.2: coord0 += d0*sg0*VW + vc0
v_cmp_lt_u32 s[52:53], v4, s[sgprSizeI]            // coord0 < size0
v_cmp_lt_u32 s[56:57], v1, s[sgprSizeJ]            // coord1 < size1
s_and_b64 s[56:57], s[52:53], s[56:57]             // in0 && in1
_v_add_lshl_u32 v214, v3, v4, 0x1                  // scaleToBpe: accumulate d0 lower and *= bpe into Cin addr
v_cndmask_b32 v214, -1, v214, s[56:57]             // LDD clip if OOB. offset
/* (d1,vc1,d0,vc0)=(4,1,0,0) */
_v_add_co_u32 v1, vcc, v1, 1                       // coord1.1: coord1Vgpr += d1*sg1*VW + vc1

/* Fix for UseInitialStridesCD, emitAddressSetupCode */
_v_add_u32 v2, v2, s[sgprStrideC1J]                // ROWINC- Move cinRowPtr to next row
_v_add_u32 v3, v3, s[sgprStrideD1J]                // Move coutRowPtr to next row
v_cmp_lt_u32 s[52:53], v0, s[sgprSizeI]            // coord0 < size0
v_cmp_lt_u32 s[56:57], v1, s[sgprSizeJ]            // coord1 < size1
s_and_b64 s[56:57], s[52:53], s[56:57]             // in0 && in1
_v_add_lshl_u32 v215, v3, v0, 0x1                  // scaleToBpe: accumulate d0 lower and *= bpe into Cin addr
v_cndmask_b32 v215, -1, v215, s[56:57]             // LDD clip if OOB. offset
/* (d1,vc1,d0,vc0)=(4,1,1,0) */
_v_add_co_u32 v4, vcc, v0, 64                      // coord0.1: coord0 += d0*sg0*VW + vc0
v_cmp_lt_u32 s[52:53], v4, s[sgprSizeI]            // coord0 < size0
v_cmp_lt_u32 s[56:57], v1, s[sgprSizeJ]            // coord1 < size1
s_and_b64 s[56:57], s[52:53], s[56:57]             // in0 && in1
_v_add_lshl_u32 v220, v3, v4, 0x1                  // scaleToBpe: accumulate d0 lower and *= bpe into Cin addr
v_cndmask_b32 v220, -1, v220, s[56:57]             // LDD clip if OOB. offset
/* (d1,vc1,d0,vc0)=(4,1,2,0) */
s_mov_b32 s52, 128                                 // coordOffset0 d0=2 vc0=0
_v_add_co_u32 v4, vcc, v0, s52                     // coord0.2: coord0 += d0*sg0*VW + vc0
v_cmp_lt_u32 s[52:53], v4, s[sgprSizeI]            // coord0 < size0
v_cmp_lt_u32 s[56:57], v1, s[sgprSizeJ]            // coord1 < size1
s_and_b64 s[56:57], s[52:53], s[56:57]             // in0 && in1
_v_add_lshl_u32 v221, v3, v4, 0x1                  // scaleToBpe: accumulate d0 lower and *= bpe into Cin addr
v_cndmask_b32 v221, -1, v221, s[56:57]             // LDD clip if OOB. offset
/* (d1,vc1,d0,vc0)=(4,1,3,0) */
s_mov_b32 s52, 192                                 // coordOffset0 d0=3 vc0=0
_v_add_co_u32 v4, vcc, v0, s52                     // coord0.2: coord0 += d0*sg0*VW + vc0
v_cmp_lt_u32 s[52:53], v4, s[sgprSizeI]            // coord0 < size0
v_cmp_lt_u32 s[56:57], v1, s[sgprSizeJ]            // coord1 < size1
s_and_b64 s[56:57], s[52:53], s[56:57]             // in0 && in1
_v_add_lshl_u32 v226, v3, v4, 0x1                  // scaleToBpe: accumulate d0 lower and *= bpe into Cin addr
v_cndmask_b32 v226, -1, v226, s[56:57]             // LDD clip if OOB. offset
/* (d1,vc1,d0,vc0)=(4,2,0,0) */
_v_add_co_u32 v1, vcc, v1, 1                       // coord1.1: coord1Vgpr += d1*sg1*VW + vc1

/* Fix for UseInitialStridesCD, emitAddressSetupCode */
_v_add_u32 v2, v2, s[sgprStrideC1J]                // ROWINC- Move cinRowPtr to next row
_v_add_u32 v3, v3, s[sgprStrideD1J]                // Move coutRowPtr to next row
	;; [unrolled: 34-line block ×3, first 2 shown]
v_cmp_lt_u32 s[52:53], v0, s[sgprSizeI]            // coord0 < size0
v_cmp_lt_u32 s[56:57], v1, s[sgprSizeJ]            // coord1 < size1
s_and_b64 s[56:57], s[52:53], s[56:57]             // in0 && in1
_v_add_lshl_u32 v239, v3, v0, 0x1                  // scaleToBpe: accumulate d0 lower and *= bpe into Cin addr
v_cndmask_b32 v239, -1, v239, s[56:57]             // LDD clip if OOB. offset
/* (d1,vc1,d0,vc0)=(4,3,1,0) */
_v_add_co_u32 v4, vcc, v0, 64                      // coord0.1: coord0 += d0*sg0*VW + vc0
v_cmp_lt_u32 s[52:53], v4, s[sgprSizeI]            // coord0 < size0
v_cmp_lt_u32 s[56:57], v1, s[sgprSizeJ]            // coord1 < size1
s_and_b64 s[56:57], s[52:53], s[56:57]             // in0 && in1
_v_add_lshl_u32 v244, v3, v4, 0x1                  // scaleToBpe: accumulate d0 lower and *= bpe into Cin addr
v_cndmask_b32 v244, -1, v244, s[56:57]             // LDD clip if OOB. offset
/* (d1,vc1,d0,vc0)=(4,3,2,0) */
s_mov_b32 s52, 128                                 // coordOffset0 d0=2 vc0=0
_v_add_co_u32 v4, vcc, v0, s52                     // coord0.2: coord0 += d0*sg0*VW + vc0
v_cmp_lt_u32 s[52:53], v4, s[sgprSizeI]            // coord0 < size0
v_cmp_lt_u32 s[56:57], v1, s[sgprSizeJ]            // coord1 < size1
s_and_b64 s[56:57], s[52:53], s[56:57]             // in0 && in1
_v_add_lshl_u32 v245, v3, v4, 0x1                  // scaleToBpe: accumulate d0 lower and *= bpe into Cin addr
v_cndmask_b32 v245, -1, v245, s[56:57]             // LDD clip if OOB. offset
/* (d1,vc1,d0,vc0)=(4,3,3,0) */
s_mov_b32 s52, 192                                 // coordOffset0 d0=3 vc0=0
_v_add_co_u32 v4, vcc, v0, s52                     // coord0.2: coord0 += d0*sg0*VW + vc0
v_cmp_lt_u32 s[52:53], v4, s[sgprSizeI]            // coord0 < size0
v_cmp_lt_u32 s[56:57], v1, s[sgprSizeJ]            // coord1 < size1
s_and_b64 s[56:57], s[52:53], s[56:57]             // in0 && in1
_v_add_lshl_u32 v250, v3, v4, 0x1                  // scaleToBpe: accumulate d0 lower and *= bpe into Cin addr
v_cndmask_b32 v250, -1, v250, s[56:57]             // LDD clip if OOB. offset
v_accvgpr_read_b32 v[vgprValuC+12], acc0 // copy acc to vreg[0]
v_accvgpr_read_b32 v[vgprValuC+13], acc4 // copy acc to vreg[1]
v_accvgpr_read_b32 v[vgprValuC+14], acc8 // copy acc to vreg[2]
v_accvgpr_read_b32 v[vgprValuC+15], acc12 // copy acc to vreg[3]
v_accvgpr_read_b32 v[vgprValuC+18], acc16 // copy acc to vreg[4]
v_accvgpr_read_b32 v[vgprValuC+19], acc20 // copy acc to vreg[5]
v_accvgpr_read_b32 v[vgprValuC+20], acc24 // copy acc to vreg[6]
v_accvgpr_read_b32 v[vgprValuC+21], acc28 // copy acc to vreg[7]
v_accvgpr_read_b32 v[vgprValuC+24], acc1 // copy acc to vreg[8]
v_accvgpr_read_b32 v[vgprValuC+25], acc5 // copy acc to vreg[9]
v_accvgpr_read_b32 v[vgprValuC+26], acc9 // copy acc to vreg[10]
v_accvgpr_read_b32 v[vgprValuC+27], acc13 // copy acc to vreg[11]
v_accvgpr_read_b32 v[vgprValuC+30], acc17 // copy acc to vreg[12]
v_accvgpr_read_b32 v[vgprValuC+31], acc21 // copy acc to vreg[13]
v_accvgpr_read_b32 v[vgprValuC+32], acc25 // copy acc to vreg[14]
v_accvgpr_read_b32 v[vgprValuC+33], acc29 // copy acc to vreg[15]
v_accvgpr_read_b32 v[vgprValuC+36], acc2 // copy acc to vreg[16]
v_accvgpr_read_b32 v[vgprValuC+37], acc6 // copy acc to vreg[17]
v_accvgpr_read_b32 v[vgprValuC+38], acc10 // copy acc to vreg[18]
v_accvgpr_read_b32 v[vgprValuC+39], acc14 // copy acc to vreg[19]
v_accvgpr_read_b32 v[vgprValuC+42], acc18 // copy acc to vreg[20]
v_accvgpr_read_b32 v[vgprValuC+43], acc22 // copy acc to vreg[21]
v_accvgpr_read_b32 v[vgprValuC+44], acc26 // copy acc to vreg[22]
v_accvgpr_read_b32 v[vgprValuC+45], acc30 // copy acc to vreg[23]
v_accvgpr_read_b32 v[vgprValuC+48], acc3 // copy acc to vreg[24]
v_accvgpr_read_b32 v[vgprValuC+49], acc7 // copy acc to vreg[25]
v_accvgpr_read_b32 v[vgprValuC+50], acc11 // copy acc to vreg[26]
v_accvgpr_read_b32 v[vgprValuC+51], acc15 // copy acc to vreg[27]
v_accvgpr_read_b32 v[vgprValuC+54], acc19 // copy acc to vreg[28]
v_accvgpr_read_b32 v[vgprValuC+55], acc23 // copy acc to vreg[29]
v_accvgpr_read_b32 v[vgprValuC+56], acc27 // copy acc to vreg[30]
v_accvgpr_read_b32 v[vgprValuC+57], acc31 // copy acc to vreg[31]
v_accvgpr_read_b32 v[vgprValuC+60], acc32 // copy acc to vreg[32]
v_accvgpr_read_b32 v[vgprValuC+61], acc36 // copy acc to vreg[33]
v_accvgpr_read_b32 v[vgprValuC+62], acc40 // copy acc to vreg[34]
v_accvgpr_read_b32 v[vgprValuC+63], acc44 // copy acc to vreg[35]
v_accvgpr_read_b32 v[vgprValuC+66], acc48 // copy acc to vreg[36]
v_accvgpr_read_b32 v[vgprValuC+67], acc52 // copy acc to vreg[37]
v_accvgpr_read_b32 v[vgprValuC+68], acc56 // copy acc to vreg[38]
v_accvgpr_read_b32 v[vgprValuC+69], acc60 // copy acc to vreg[39]
v_accvgpr_read_b32 v[vgprValuC+72], acc33 // copy acc to vreg[40]
v_accvgpr_read_b32 v[vgprValuC+73], acc37 // copy acc to vreg[41]
v_accvgpr_read_b32 v[vgprValuC+74], acc41 // copy acc to vreg[42]
v_accvgpr_read_b32 v[vgprValuC+75], acc45 // copy acc to vreg[43]
v_accvgpr_read_b32 v[vgprValuC+78], acc49 // copy acc to vreg[44]
v_accvgpr_read_b32 v[vgprValuC+79], acc53 // copy acc to vreg[45]
v_accvgpr_read_b32 v[vgprValuC+80], acc57 // copy acc to vreg[46]
v_accvgpr_read_b32 v[vgprValuC+81], acc61 // copy acc to vreg[47]
v_accvgpr_read_b32 v[vgprValuC+84], acc34 // copy acc to vreg[48]
v_accvgpr_read_b32 v[vgprValuC+85], acc38 // copy acc to vreg[49]
v_accvgpr_read_b32 v[vgprValuC+86], acc42 // copy acc to vreg[50]
v_accvgpr_read_b32 v[vgprValuC+87], acc46 // copy acc to vreg[51]
v_accvgpr_read_b32 v[vgprValuC+90], acc50 // copy acc to vreg[52]
v_accvgpr_read_b32 v[vgprValuC+91], acc54 // copy acc to vreg[53]
v_accvgpr_read_b32 v[vgprValuC+92], acc58 // copy acc to vreg[54]
v_accvgpr_read_b32 v[vgprValuC+93], acc62 // copy acc to vreg[55]
v_accvgpr_read_b32 v[vgprValuC+96], acc35 // copy acc to vreg[56]
v_accvgpr_read_b32 v[vgprValuC+97], acc39 // copy acc to vreg[57]
v_accvgpr_read_b32 v[vgprValuC+98], acc43 // copy acc to vreg[58]
v_accvgpr_read_b32 v[vgprValuC+99], acc47 // copy acc to vreg[59]
v_accvgpr_read_b32 v[vgprValuC+102], acc51 // copy acc to vreg[60]
v_accvgpr_read_b32 v[vgprValuC+103], acc55 // copy acc to vreg[61]
v_accvgpr_read_b32 v[vgprValuC+104], acc59 // copy acc to vreg[62]
v_accvgpr_read_b32 v[vgprValuC+105], acc63 // copy acc to vreg[63]
v_accvgpr_read_b32 v[vgprValuC+108], acc64 // copy acc to vreg[64]
v_accvgpr_read_b32 v[vgprValuC+109], acc68 // copy acc to vreg[65]
v_accvgpr_read_b32 v[vgprValuC+110], acc72 // copy acc to vreg[66]
v_accvgpr_read_b32 v[vgprValuC+111], acc76 // copy acc to vreg[67]
v_accvgpr_read_b32 v[vgprValuC+114], acc80 // copy acc to vreg[68]
v_accvgpr_read_b32 v[vgprValuC+115], acc84 // copy acc to vreg[69]
v_accvgpr_read_b32 v[vgprValuC+116], acc88 // copy acc to vreg[70]
v_accvgpr_read_b32 v[vgprValuC+117], acc92 // copy acc to vreg[71]
v_accvgpr_read_b32 v[vgprValuC+120], acc65 // copy acc to vreg[72]
v_accvgpr_read_b32 v[vgprValuC+121], acc69 // copy acc to vreg[73]
v_accvgpr_read_b32 v[vgprValuC+122], acc73 // copy acc to vreg[74]
v_accvgpr_read_b32 v[vgprValuC+123], acc77 // copy acc to vreg[75]
v_accvgpr_read_b32 v[vgprValuC+126], acc81 // copy acc to vreg[76]
v_accvgpr_read_b32 v[vgprValuC+127], acc85 // copy acc to vreg[77]
v_accvgpr_read_b32 v[vgprValuC+128], acc89 // copy acc to vreg[78]
v_accvgpr_read_b32 v[vgprValuC+129], acc93 // copy acc to vreg[79]
v_accvgpr_read_b32 v[vgprValuC+132], acc66 // copy acc to vreg[80]
v_accvgpr_read_b32 v[vgprValuC+133], acc70 // copy acc to vreg[81]
v_accvgpr_read_b32 v[vgprValuC+134], acc74 // copy acc to vreg[82]
v_accvgpr_read_b32 v[vgprValuC+135], acc78 // copy acc to vreg[83]
v_accvgpr_read_b32 v[vgprValuC+138], acc82 // copy acc to vreg[84]
v_accvgpr_read_b32 v[vgprValuC+139], acc86 // copy acc to vreg[85]
v_accvgpr_read_b32 v[vgprValuC+140], acc90 // copy acc to vreg[86]
v_accvgpr_read_b32 v[vgprValuC+141], acc94 // copy acc to vreg[87]
v_accvgpr_read_b32 v[vgprValuC+144], acc67 // copy acc to vreg[88]
v_accvgpr_read_b32 v[vgprValuC+145], acc71 // copy acc to vreg[89]
v_accvgpr_read_b32 v[vgprValuC+146], acc75 // copy acc to vreg[90]
v_accvgpr_read_b32 v[vgprValuC+147], acc79 // copy acc to vreg[91]
v_accvgpr_read_b32 v[vgprValuC+152], acc83 // copy acc to vreg[92]
v_accvgpr_read_b32 v[vgprValuC+153], acc87 // copy acc to vreg[93]
v_accvgpr_read_b32 v[vgprValuC+156], acc91 // copy acc to vreg[94]
v_accvgpr_read_b32 v[vgprValuC+157], acc95 // copy acc to vreg[95]
v_accvgpr_read_b32 v[vgprValuC+158], acc96 // copy acc to vreg[96]
v_accvgpr_read_b32 v[vgprValuC+159], acc100 // copy acc to vreg[97]
v_accvgpr_read_b32 v[vgprValuC+162], acc104 // copy acc to vreg[98]
v_accvgpr_read_b32 v[vgprValuC+163], acc108 // copy acc to vreg[99]
v_accvgpr_read_b32 v[vgprValuC+164], acc112 // copy acc to vreg[100]
v_accvgpr_read_b32 v[vgprValuC+165], acc116 // copy acc to vreg[101]
v_accvgpr_read_b32 v[vgprValuC+168], acc120 // copy acc to vreg[102]
v_accvgpr_read_b32 v[vgprValuC+169], acc124 // copy acc to vreg[103]
v_accvgpr_read_b32 v[vgprValuC+170], acc97 // copy acc to vreg[104]
v_accvgpr_read_b32 v[vgprValuC+171], acc101 // copy acc to vreg[105]
v_accvgpr_read_b32 v[vgprValuC+174], acc105 // copy acc to vreg[106]
v_accvgpr_read_b32 v[vgprValuC+175], acc109 // copy acc to vreg[107]
v_accvgpr_read_b32 v[vgprValuC+176], acc113 // copy acc to vreg[108]
v_accvgpr_read_b32 v[vgprValuC+177], acc117 // copy acc to vreg[109]
v_accvgpr_read_b32 v[vgprValuC+180], acc121 // copy acc to vreg[110]
v_accvgpr_read_b32 v[vgprValuC+181], acc125 // copy acc to vreg[111]
v_accvgpr_read_b32 v[vgprValuC+182], acc98 // copy acc to vreg[112]
v_accvgpr_read_b32 v[vgprValuC+183], acc102 // copy acc to vreg[113]
v_accvgpr_read_b32 v[vgprValuC+186], acc106 // copy acc to vreg[114]
v_accvgpr_read_b32 v[vgprValuC+187], acc110 // copy acc to vreg[115]
v_accvgpr_read_b32 v[vgprValuC+188], acc114 // copy acc to vreg[116]
v_accvgpr_read_b32 v[vgprValuC+189], acc118 // copy acc to vreg[117]
v_accvgpr_read_b32 v[vgprValuC+192], acc122 // copy acc to vreg[118]
v_accvgpr_read_b32 v[vgprValuC+193], acc126 // copy acc to vreg[119]
v_accvgpr_read_b32 v[vgprValuC+194], acc99 // copy acc to vreg[120]
v_accvgpr_read_b32 v[vgprValuC+195], acc103 // copy acc to vreg[121]
v_accvgpr_read_b32 v[vgprValuC+198], acc107 // copy acc to vreg[122]
v_accvgpr_read_b32 v[vgprValuC+199], acc111 // copy acc to vreg[123]
v_accvgpr_read_b32 v[vgprValuC+200], acc115 // copy acc to vreg[124]
v_accvgpr_read_b32 v[vgprValuC+201], acc119 // copy acc to vreg[125]
v_accvgpr_read_b32 v[vgprValuC+204], acc123 // copy acc to vreg[126]
v_accvgpr_read_b32 v[vgprValuC+205], acc127 // copy acc to vreg[127]
v_accvgpr_read_b32 v[vgprValuC+206], acc128 // copy acc to vreg[128]
v_accvgpr_read_b32 v[vgprValuC+207], acc132 // copy acc to vreg[129]
v_accvgpr_read_b32 v[vgprValuC+210], acc136 // copy acc to vreg[130]
v_accvgpr_read_b32 v[vgprValuC+211], acc140 // copy acc to vreg[131]
v_accvgpr_read_b32 v[vgprValuC+212], acc144 // copy acc to vreg[132]
v_accvgpr_read_b32 v[vgprValuC+213], acc148 // copy acc to vreg[133]
v_accvgpr_read_b32 v[vgprValuC+216], acc152 // copy acc to vreg[134]
v_accvgpr_read_b32 v[vgprValuC+217], acc156 // copy acc to vreg[135]
v_accvgpr_read_b32 v[vgprValuC+218], acc129 // copy acc to vreg[136]
v_accvgpr_read_b32 v[vgprValuC+219], acc133 // copy acc to vreg[137]
v_accvgpr_read_b32 v[vgprValuC+222], acc137 // copy acc to vreg[138]
v_accvgpr_read_b32 v[vgprValuC+223], acc141 // copy acc to vreg[139]
v_accvgpr_read_b32 v[vgprValuC+224], acc145 // copy acc to vreg[140]
v_accvgpr_read_b32 v[vgprValuC+225], acc149 // copy acc to vreg[141]
v_accvgpr_read_b32 v[vgprValuC+228], acc153 // copy acc to vreg[142]
v_accvgpr_read_b32 v[vgprValuC+229], acc157 // copy acc to vreg[143]
v_accvgpr_read_b32 v[vgprValuC+230], acc130 // copy acc to vreg[144]
v_accvgpr_read_b32 v[vgprValuC+231], acc134 // copy acc to vreg[145]
v_accvgpr_read_b32 v[vgprValuC+234], acc138 // copy acc to vreg[146]
v_accvgpr_read_b32 v[vgprValuC+235], acc142 // copy acc to vreg[147]
v_accvgpr_read_b32 v[vgprValuC+236], acc146 // copy acc to vreg[148]
v_accvgpr_read_b32 v[vgprValuC+237], acc150 // copy acc to vreg[149]
v_accvgpr_read_b32 v[vgprValuC+240], acc154 // copy acc to vreg[150]
v_accvgpr_read_b32 v[vgprValuC+241], acc158 // copy acc to vreg[151]
v_accvgpr_read_b32 v[vgprValuC+242], acc131 // copy acc to vreg[152]
v_accvgpr_read_b32 v[vgprValuC+243], acc135 // copy acc to vreg[153]
v_accvgpr_read_b32 v[vgprValuC+246], acc139 // copy acc to vreg[154]
v_accvgpr_read_b32 v[vgprValuC+247], acc143 // copy acc to vreg[155]
v_accvgpr_read_b32 v[vgprValuC+248], acc147 // copy acc to vreg[156]
v_accvgpr_read_b32 v[vgprValuC+249], acc151 // copy acc to vreg[157]
v_accvgpr_read_b32 v[vgprValuC+252], acc155 // copy acc to vreg[158]
v_accvgpr_read_b32 v[vgprValuC+253], acc159 // copy acc to vreg[159]
s_nop 1                                            // 2 wait states required before reading vgpr

/* rC *= alpha batchElements=[(0, 0, 0, 0), (0, 1, 0, 0), (0, 2, 0, 0), (0, 3, 0, 0), (0, 0, 1, 0), (0, 1, 1, 0), (0, 2, 1, 0), (0, 3, 1, 0), (0, 0, 2, 0), (0, 1, 2, 0), (0, 2, 2, 0), (0, 3, 2, 0), (0, 0, 3, 0), (0, 1, 3, 0), (0, 2, 3, 0), (0, 3, 3, 0), (1, 0, 0, 0), (1, 1, 0, 0), (1, 2, 0, 0), (1, 3, 0, 0), (1, 0, 1, 0), (1, 1, 1, 0), (1, 2, 1, 0), (1, 3, 1, 0), (1, 0, 2, 0), (1, 1, 2, 0), (1, 2, 2, 0), (1, 3, 2, 0), (1, 0, 3, 0), (1, 1, 3, 0), (1, 2, 3, 0), (1, 3, 3, 0), (2, 0, 0, 0), (2, 1, 0, 0), (2, 2, 0, 0), (2, 3, 0, 0), (2, 0, 1, 0), (2, 1, 1, 0), (2, 2, 1, 0), (2, 3, 1, 0), (2, 0, 2, 0), (2, 1, 2, 0), (2, 2, 2, 0), (2, 3, 2, 0), (2, 0, 3, 0), (2, 1, 3, 0), (2, 2, 3, 0), (2, 3, 3, 0), (3, 0, 0, 0), (3, 1, 0, 0), (3, 2, 0, 0), (3, 3, 0, 0), (3, 0, 1, 0), (3, 1, 1, 0), (3, 2, 1, 0), (3, 3, 1, 0), (3, 0, 2, 0), (3, 1, 2, 0), (3, 2, 2, 0), (3, 3, 2, 0), (3, 0, 3, 0), (3, 1, 3, 0), (3, 2, 3, 0), (3, 3, 3, 0), (4, 0, 0, 0), (4, 1, 0, 0), (4, 2, 0, 0), (4, 3, 0, 0), (4, 0, 1, 0), (4, 1, 1, 0), (4, 2, 1, 0), (4, 3, 1, 0), (4, 0, 2, 0), (4, 1, 2, 0), (4, 2, 2, 0), (4, 3, 2, 0), (4, 0, 3, 0), (4, 1, 3, 0), (4, 2, 3, 0), (4, 3, 3, 0)] */
v_mul_f32 v[vgprValuC+12], s[sgprAlpha], v[vgprValuC+12] // *= alpha
v_mul_f32 v[vgprValuC+13], s[sgprAlpha], v[vgprValuC+13] // *= alpha
	;; [unrolled: 1-line block ×160, first 2 shown]

/* apply mask, calc new C and issue writes */
v_mov_b32 v7, 0xffff0000                           // mask for pack two bfloat16 element to 32bit
v_mov_b32 v8, 0x7fff0000                           // fp32 Nan
v_mov_b32 v9, 0x7fff                               // rounding bias for bfloat16
v_cmp_u_f32 s[52:53], v[vgprValuC+12], v[vgprValuC+12] // check Nan
v_bfe_u32 v6, v[vgprValuC+12], 16, 1               // Non-Nan case: store lsb of bf16
v_add3_u32 v6, v[vgprValuC+12], v6, v9             // Non-Nan case: add lsb and the increment for rounding
v_cndmask_b32 v[vgprValuC+12], v6, v8, s[52:53]    // 
v_lshrrev_b32 v[vgprValuC+12], 16, v[vgprValuC+12] // convert C to bf16
v_cmp_u_f32 s[52:53], v[vgprValuC+13], v[vgprValuC+13] // check Nan
v_bfe_u32 v6, v[vgprValuC+13], 16, 1               // Non-Nan case: store lsb of bf16
v_add3_u32 v6, v[vgprValuC+13], v6, v9             // Non-Nan case: add lsb and the increment for rounding
v_cndmask_b32 v[vgprValuC+13], v6, v8, s[52:53]    // 
v_and_or_b32 v12, v[vgprValuC+13], v7, v[vgprValuC+12] // pack two bf16 to dword
_buffer_store_b32 v12, v10, s[sgprSrdD:sgprSrdD+3], 0, offen, offset:0,  sc0 sc1 // store D
v_cmp_u_f32 s[52:53], v[vgprValuC+14], v[vgprValuC+14] // check Nan
v_bfe_u32 v6, v[vgprValuC+14], 16, 1               // Non-Nan case: store lsb of bf16
v_add3_u32 v6, v[vgprValuC+14], v6, v9             // Non-Nan case: add lsb and the increment for rounding
v_cndmask_b32 v[vgprValuC+14], v6, v8, s[52:53]    // 
v_lshrrev_b32 v[vgprValuC+14], 16, v[vgprValuC+14] // convert C to bf16
v_cmp_u_f32 s[52:53], v[vgprValuC+15], v[vgprValuC+15] // check Nan
v_bfe_u32 v6, v[vgprValuC+15], 16, 1               // Non-Nan case: store lsb of bf16
v_add3_u32 v6, v[vgprValuC+15], v6, v9             // Non-Nan case: add lsb and the increment for rounding
v_cndmask_b32 v[vgprValuC+15], v6, v8, s[52:53]    // 
v_and_or_b32 v14, v[vgprValuC+15], v7, v[vgprValuC+14] // pack two bf16 to dword
_buffer_store_b32 v14, v11, s[sgprSrdD:sgprSrdD+3], 0, offen, offset:0,  sc0 sc1 // store D
	;; [unrolled: 11-line block ×30, first 2 shown]
v_cmp_u_f32 s[52:53], v[vgprValuC+102], v[vgprValuC+102] // check Nan
v_bfe_u32 v6, v[vgprValuC+102], 16, 1              // Non-Nan case: store lsb of bf16
v_add3_u32 v6, v[vgprValuC+102], v6, v9            // Non-Nan case: add lsb and the increment for rounding
v_cndmask_b32 v[vgprValuC+102], v6, v8, s[52:53]   // 
v_lshrrev_b32 v[vgprValuC+102], 16, v[vgprValuC+102] // convert C to bf16
v_cmp_u_f32 s[52:53], v[vgprValuC+103], v[vgprValuC+103] // check Nan
v_bfe_u32 v6, v[vgprValuC+103], 16, 1              // Non-Nan case: store lsb of bf16
v_add3_u32 v6, v[vgprValuC+103], v6, v9            // Non-Nan case: add lsb and the increment for rounding
v_cndmask_b32 v[vgprValuC+103], v6, v8, s[52:53]   // 
v_and_or_b32 v102, v[vgprValuC+103], v7, v[vgprValuC+102] // pack two bf16 to dword
_buffer_store_b32 v102, v100, s[sgprSrdD:sgprSrdD+3], 0, offen, offset:0,  sc0 sc1 // store D
v_cmp_u_f32 s[52:53], v[vgprValuC+104], v[vgprValuC+104] // check Nan
v_bfe_u32 v6, v[vgprValuC+104], 16, 1              // Non-Nan case: store lsb of bf16
v_add3_u32 v6, v[vgprValuC+104], v6, v9            // Non-Nan case: add lsb and the increment for rounding
v_cndmask_b32 v[vgprValuC+104], v6, v8, s[52:53]   // 
v_lshrrev_b32 v[vgprValuC+104], 16, v[vgprValuC+104] // convert C to bf16
v_cmp_u_f32 s[52:53], v[vgprValuC+105], v[vgprValuC+105] // check Nan
v_bfe_u32 v6, v[vgprValuC+105], 16, 1              // Non-Nan case: store lsb of bf16
v_add3_u32 v6, v[vgprValuC+105], v6, v9            // Non-Nan case: add lsb and the increment for rounding
v_cndmask_b32 v[vgprValuC+105], v6, v8, s[52:53]   // 
v_and_or_b32 v104, v[vgprValuC+105], v7, v[vgprValuC+104] // pack two bf16 to dword
_buffer_store_b32 v104, v101, s[sgprSrdD:sgprSrdD+3], 0, offen, offset:0,  sc0 sc1 // store D
	;; [unrolled: 11-line block ×50, first 2 shown]
s_nop 0                                            // 1 wait state required when next inst writes vgprs held by previous dwordx4 store inst
/* optSingleColVgpr=0 optSharedColVgpr=0 optSGPRUsage=BufferLoad_Edge_Mask optSrdIncForRow=0 */

/******************************************/
/* Global Write Alpha Edge Batch #1 (d1,d0,vc1,vc0) = */
/*    (5,0,0,0:vw2); (5,1,0,0:vw2); (5,2,0,0:vw2); (5,3,0,0:vw2); (5,0,1,0:vw2); (5,1,1,0:vw2); (5,2,1,0:vw2); (5,3,1,0:vw2); (5,0,2,0:vw2); (5,1,2,0:vw2); (5,2,2,0:vw2); (5,3,2,0:vw2); (5,0,3,0:vw2); (5,1,3,0:vw2); (5,2,3,0:vw2); (5,3,3,0:vw2); (6,0,0,0:vw2); (6,1,0,0:vw2); (6,2,0,0:vw2); (6,3,0,0:vw2); (6,0,1,0:vw2); (6,1,1,0:vw2); (6,2,1,0:vw2); (6,3,1,0:vw2); (6,0,2,0:vw2); (6,1,2,0:vw2); (6,2,2,0:vw2); (6,3,2,0:vw2); (6,0,3,0:vw2); (6,1,3,0:vw2); (6,2,3,0:vw2); (6,3,3,0:vw2); (7,0,0,0:vw2); (7,1,0,0:vw2); (7,2,0,0:vw2); (7,3,0,0:vw2); (7,0,1,0:vw2); (7,1,1,0:vw2); (7,2,1,0:vw2); (7,3,1,0:vw2); (7,0,2,0:vw2); (7,1,2,0:vw2); (7,2,2,0:vw2); (7,3,2,0:vw2); (7,0,3,0:vw2); (7,1,3,0:vw2); (7,2,3,0:vw2); (7,3,3,0:vw2) */
/******************************************/

/* calc coords, apply mask, and issue loads (if necessary) */
/* (d1,vc1,d0,vc0)=(5,0,0,0) */
_v_add_co_u32 v1, vcc, v1, 29                      // coord1.1: coord1Vgpr += d1*sg1*VW + vc1

/* Fix for UseInitialStridesCD, emitAddressSetupCode */
s_mul_i32 s52, s[sgprStrideC1J], 29                // scale stride
_v_add_u32 v2, v2, s52                             // ROWINC- Move cinRowPtr to next row
s_mul_i32 s52, s[sgprStrideD1J], 29                // scale stride
_v_add_u32 v3, v3, s52                             // Move coutRowPtr to next row
v_cmp_lt_u32 s[52:53], v0, s[sgprSizeI]            // coord0 < size0
v_cmp_lt_u32 s[56:57], v1, s[sgprSizeJ]            // coord1 < size1
s_and_b64 s[56:57], s[52:53], s[56:57]             // in0 && in1
_v_add_lshl_u32 v10, v3, v0, 0x1                   // scaleToBpe: accumulate d0 lower and *= bpe into Cin addr
v_cndmask_b32 v10, -1, v10, s[56:57]               // LDD clip if OOB. offset
/* (d1,vc1,d0,vc0)=(5,0,1,0) */
_v_add_co_u32 v4, vcc, v0, 64                      // coord0.1: coord0 += d0*sg0*VW + vc0
v_cmp_lt_u32 s[52:53], v4, s[sgprSizeI]            // coord0 < size0
v_cmp_lt_u32 s[56:57], v1, s[sgprSizeJ]            // coord1 < size1
s_and_b64 s[56:57], s[52:53], s[56:57]             // in0 && in1
_v_add_lshl_u32 v11, v3, v4, 0x1                   // scaleToBpe: accumulate d0 lower and *= bpe into Cin addr
v_cndmask_b32 v11, -1, v11, s[56:57]               // LDD clip if OOB. offset
/* (d1,vc1,d0,vc0)=(5,0,2,0) */
s_mov_b32 s52, 128                                 // coordOffset0 d0=2 vc0=0
_v_add_co_u32 v4, vcc, v0, s52                     // coord0.2: coord0 += d0*sg0*VW + vc0
v_cmp_lt_u32 s[52:53], v4, s[sgprSizeI]            // coord0 < size0
v_cmp_lt_u32 s[56:57], v1, s[sgprSizeJ]            // coord1 < size1
s_and_b64 s[56:57], s[52:53], s[56:57]             // in0 && in1
_v_add_lshl_u32 v16, v3, v4, 0x1                   // scaleToBpe: accumulate d0 lower and *= bpe into Cin addr
v_cndmask_b32 v16, -1, v16, s[56:57]               // LDD clip if OOB. offset
/* (d1,vc1,d0,vc0)=(5,0,3,0) */
s_mov_b32 s52, 192                                 // coordOffset0 d0=3 vc0=0
_v_add_co_u32 v4, vcc, v0, s52                     // coord0.2: coord0 += d0*sg0*VW + vc0
v_cmp_lt_u32 s[52:53], v4, s[sgprSizeI]            // coord0 < size0
v_cmp_lt_u32 s[56:57], v1, s[sgprSizeJ]            // coord1 < size1
s_and_b64 s[56:57], s[52:53], s[56:57]             // in0 && in1
_v_add_lshl_u32 v17, v3, v4, 0x1                   // scaleToBpe: accumulate d0 lower and *= bpe into Cin addr
v_cndmask_b32 v17, -1, v17, s[56:57]               // LDD clip if OOB. offset
/* (d1,vc1,d0,vc0)=(5,1,0,0) */
_v_add_co_u32 v1, vcc, v1, 1                       // coord1.1: coord1Vgpr += d1*sg1*VW + vc1

/* Fix for UseInitialStridesCD, emitAddressSetupCode */
_v_add_u32 v2, v2, s[sgprStrideC1J]                // ROWINC- Move cinRowPtr to next row
_v_add_u32 v3, v3, s[sgprStrideD1J]                // Move coutRowPtr to next row
v_cmp_lt_u32 s[52:53], v0, s[sgprSizeI]            // coord0 < size0
v_cmp_lt_u32 s[56:57], v1, s[sgprSizeJ]            // coord1 < size1
s_and_b64 s[56:57], s[52:53], s[56:57]             // in0 && in1
_v_add_lshl_u32 v22, v3, v0, 0x1                   // scaleToBpe: accumulate d0 lower and *= bpe into Cin addr
v_cndmask_b32 v22, -1, v22, s[56:57]               // LDD clip if OOB. offset
/* (d1,vc1,d0,vc0)=(5,1,1,0) */
_v_add_co_u32 v4, vcc, v0, 64                      // coord0.1: coord0 += d0*sg0*VW + vc0
v_cmp_lt_u32 s[52:53], v4, s[sgprSizeI]            // coord0 < size0
v_cmp_lt_u32 s[56:57], v1, s[sgprSizeJ]            // coord1 < size1
s_and_b64 s[56:57], s[52:53], s[56:57]             // in0 && in1
_v_add_lshl_u32 v23, v3, v4, 0x1                   // scaleToBpe: accumulate d0 lower and *= bpe into Cin addr
v_cndmask_b32 v23, -1, v23, s[56:57]               // LDD clip if OOB. offset
/* (d1,vc1,d0,vc0)=(5,1,2,0) */
s_mov_b32 s52, 128                                 // coordOffset0 d0=2 vc0=0
_v_add_co_u32 v4, vcc, v0, s52                     // coord0.2: coord0 += d0*sg0*VW + vc0
v_cmp_lt_u32 s[52:53], v4, s[sgprSizeI]            // coord0 < size0
v_cmp_lt_u32 s[56:57], v1, s[sgprSizeJ]            // coord1 < size1
s_and_b64 s[56:57], s[52:53], s[56:57]             // in0 && in1
_v_add_lshl_u32 v28, v3, v4, 0x1                   // scaleToBpe: accumulate d0 lower and *= bpe into Cin addr
v_cndmask_b32 v28, -1, v28, s[56:57]               // LDD clip if OOB. offset
/* (d1,vc1,d0,vc0)=(5,1,3,0) */
s_mov_b32 s52, 192                                 // coordOffset0 d0=3 vc0=0
_v_add_co_u32 v4, vcc, v0, s52                     // coord0.2: coord0 += d0*sg0*VW + vc0
v_cmp_lt_u32 s[52:53], v4, s[sgprSizeI]            // coord0 < size0
v_cmp_lt_u32 s[56:57], v1, s[sgprSizeJ]            // coord1 < size1
s_and_b64 s[56:57], s[52:53], s[56:57]             // in0 && in1
_v_add_lshl_u32 v29, v3, v4, 0x1                   // scaleToBpe: accumulate d0 lower and *= bpe into Cin addr
v_cndmask_b32 v29, -1, v29, s[56:57]               // LDD clip if OOB. offset
/* (d1,vc1,d0,vc0)=(5,2,0,0) */
_v_add_co_u32 v1, vcc, v1, 1                       // coord1.1: coord1Vgpr += d1*sg1*VW + vc1

/* Fix for UseInitialStridesCD, emitAddressSetupCode */
_v_add_u32 v2, v2, s[sgprStrideC1J]                // ROWINC- Move cinRowPtr to next row
_v_add_u32 v3, v3, s[sgprStrideD1J]                // Move coutRowPtr to next row
	;; [unrolled: 34-line block ×3, first 2 shown]
v_cmp_lt_u32 s[52:53], v0, s[sgprSizeI]            // coord0 < size0
v_cmp_lt_u32 s[56:57], v1, s[sgprSizeJ]            // coord1 < size1
s_and_b64 s[56:57], s[52:53], s[56:57]             // in0 && in1
_v_add_lshl_u32 v46, v3, v0, 0x1                   // scaleToBpe: accumulate d0 lower and *= bpe into Cin addr
v_cndmask_b32 v46, -1, v46, s[56:57]               // LDD clip if OOB. offset
/* (d1,vc1,d0,vc0)=(5,3,1,0) */
_v_add_co_u32 v4, vcc, v0, 64                      // coord0.1: coord0 += d0*sg0*VW + vc0
v_cmp_lt_u32 s[52:53], v4, s[sgprSizeI]            // coord0 < size0
v_cmp_lt_u32 s[56:57], v1, s[sgprSizeJ]            // coord1 < size1
s_and_b64 s[56:57], s[52:53], s[56:57]             // in0 && in1
_v_add_lshl_u32 v47, v3, v4, 0x1                   // scaleToBpe: accumulate d0 lower and *= bpe into Cin addr
v_cndmask_b32 v47, -1, v47, s[56:57]               // LDD clip if OOB. offset
/* (d1,vc1,d0,vc0)=(5,3,2,0) */
s_mov_b32 s52, 128                                 // coordOffset0 d0=2 vc0=0
_v_add_co_u32 v4, vcc, v0, s52                     // coord0.2: coord0 += d0*sg0*VW + vc0
v_cmp_lt_u32 s[52:53], v4, s[sgprSizeI]            // coord0 < size0
v_cmp_lt_u32 s[56:57], v1, s[sgprSizeJ]            // coord1 < size1
s_and_b64 s[56:57], s[52:53], s[56:57]             // in0 && in1
_v_add_lshl_u32 v52, v3, v4, 0x1                   // scaleToBpe: accumulate d0 lower and *= bpe into Cin addr
v_cndmask_b32 v52, -1, v52, s[56:57]               // LDD clip if OOB. offset
/* (d1,vc1,d0,vc0)=(5,3,3,0) */
s_mov_b32 s52, 192                                 // coordOffset0 d0=3 vc0=0
_v_add_co_u32 v4, vcc, v0, s52                     // coord0.2: coord0 += d0*sg0*VW + vc0
v_cmp_lt_u32 s[52:53], v4, s[sgprSizeI]            // coord0 < size0
v_cmp_lt_u32 s[56:57], v1, s[sgprSizeJ]            // coord1 < size1
s_and_b64 s[56:57], s[52:53], s[56:57]             // in0 && in1
_v_add_lshl_u32 v53, v3, v4, 0x1                   // scaleToBpe: accumulate d0 lower and *= bpe into Cin addr
v_cndmask_b32 v53, -1, v53, s[56:57]               // LDD clip if OOB. offset
/* (d1,vc1,d0,vc0)=(6,0,0,0) */
_v_add_co_u32 v1, vcc, v1, 29                      // coord1.1: coord1Vgpr += d1*sg1*VW + vc1

/* Fix for UseInitialStridesCD, emitAddressSetupCode */
s_mul_i32 s52, s[sgprStrideC1J], 29                // scale stride
_v_add_u32 v2, v2, s52                             // ROWINC- Move cinRowPtr to next row
s_mul_i32 s52, s[sgprStrideD1J], 29                // scale stride
_v_add_u32 v3, v3, s52                             // Move coutRowPtr to next row
v_cmp_lt_u32 s[52:53], v0, s[sgprSizeI]            // coord0 < size0
v_cmp_lt_u32 s[56:57], v1, s[sgprSizeJ]            // coord1 < size1
s_and_b64 s[56:57], s[52:53], s[56:57]             // in0 && in1
_v_add_lshl_u32 v58, v3, v0, 0x1                   // scaleToBpe: accumulate d0 lower and *= bpe into Cin addr
v_cndmask_b32 v58, -1, v58, s[56:57]               // LDD clip if OOB. offset
/* (d1,vc1,d0,vc0)=(6,0,1,0) */
_v_add_co_u32 v4, vcc, v0, 64                      // coord0.1: coord0 += d0*sg0*VW + vc0
v_cmp_lt_u32 s[52:53], v4, s[sgprSizeI]            // coord0 < size0
v_cmp_lt_u32 s[56:57], v1, s[sgprSizeJ]            // coord1 < size1
s_and_b64 s[56:57], s[52:53], s[56:57]             // in0 && in1
_v_add_lshl_u32 v59, v3, v4, 0x1                   // scaleToBpe: accumulate d0 lower and *= bpe into Cin addr
v_cndmask_b32 v59, -1, v59, s[56:57]               // LDD clip if OOB. offset
/* (d1,vc1,d0,vc0)=(6,0,2,0) */
s_mov_b32 s52, 128                                 // coordOffset0 d0=2 vc0=0
_v_add_co_u32 v4, vcc, v0, s52                     // coord0.2: coord0 += d0*sg0*VW + vc0
v_cmp_lt_u32 s[52:53], v4, s[sgprSizeI]            // coord0 < size0
v_cmp_lt_u32 s[56:57], v1, s[sgprSizeJ]            // coord1 < size1
s_and_b64 s[56:57], s[52:53], s[56:57]             // in0 && in1
_v_add_lshl_u32 v64, v3, v4, 0x1                   // scaleToBpe: accumulate d0 lower and *= bpe into Cin addr
v_cndmask_b32 v64, -1, v64, s[56:57]               // LDD clip if OOB. offset
/* (d1,vc1,d0,vc0)=(6,0,3,0) */
s_mov_b32 s52, 192                                 // coordOffset0 d0=3 vc0=0
_v_add_co_u32 v4, vcc, v0, s52                     // coord0.2: coord0 += d0*sg0*VW + vc0
v_cmp_lt_u32 s[52:53], v4, s[sgprSizeI]            // coord0 < size0
v_cmp_lt_u32 s[56:57], v1, s[sgprSizeJ]            // coord1 < size1
s_and_b64 s[56:57], s[52:53], s[56:57]             // in0 && in1
_v_add_lshl_u32 v65, v3, v4, 0x1                   // scaleToBpe: accumulate d0 lower and *= bpe into Cin addr
v_cndmask_b32 v65, -1, v65, s[56:57]               // LDD clip if OOB. offset
/* (d1,vc1,d0,vc0)=(6,1,0,0) */
_v_add_co_u32 v1, vcc, v1, 1                       // coord1.1: coord1Vgpr += d1*sg1*VW + vc1

/* Fix for UseInitialStridesCD, emitAddressSetupCode */
_v_add_u32 v2, v2, s[sgprStrideC1J]                // ROWINC- Move cinRowPtr to next row
_v_add_u32 v3, v3, s[sgprStrideD1J]                // Move coutRowPtr to next row
v_cmp_lt_u32 s[52:53], v0, s[sgprSizeI]            // coord0 < size0
v_cmp_lt_u32 s[56:57], v1, s[sgprSizeJ]            // coord1 < size1
s_and_b64 s[56:57], s[52:53], s[56:57]             // in0 && in1
_v_add_lshl_u32 v70, v3, v0, 0x1                   // scaleToBpe: accumulate d0 lower and *= bpe into Cin addr
v_cndmask_b32 v70, -1, v70, s[56:57]               // LDD clip if OOB. offset
/* (d1,vc1,d0,vc0)=(6,1,1,0) */
_v_add_co_u32 v4, vcc, v0, 64                      // coord0.1: coord0 += d0*sg0*VW + vc0
v_cmp_lt_u32 s[52:53], v4, s[sgprSizeI]            // coord0 < size0
v_cmp_lt_u32 s[56:57], v1, s[sgprSizeJ]            // coord1 < size1
s_and_b64 s[56:57], s[52:53], s[56:57]             // in0 && in1
_v_add_lshl_u32 v71, v3, v4, 0x1                   // scaleToBpe: accumulate d0 lower and *= bpe into Cin addr
v_cndmask_b32 v71, -1, v71, s[56:57]               // LDD clip if OOB. offset
/* (d1,vc1,d0,vc0)=(6,1,2,0) */
s_mov_b32 s52, 128                                 // coordOffset0 d0=2 vc0=0
_v_add_co_u32 v4, vcc, v0, s52                     // coord0.2: coord0 += d0*sg0*VW + vc0
v_cmp_lt_u32 s[52:53], v4, s[sgprSizeI]            // coord0 < size0
v_cmp_lt_u32 s[56:57], v1, s[sgprSizeJ]            // coord1 < size1
s_and_b64 s[56:57], s[52:53], s[56:57]             // in0 && in1
_v_add_lshl_u32 v76, v3, v4, 0x1                   // scaleToBpe: accumulate d0 lower and *= bpe into Cin addr
v_cndmask_b32 v76, -1, v76, s[56:57]               // LDD clip if OOB. offset
/* (d1,vc1,d0,vc0)=(6,1,3,0) */
s_mov_b32 s52, 192                                 // coordOffset0 d0=3 vc0=0
_v_add_co_u32 v4, vcc, v0, s52                     // coord0.2: coord0 += d0*sg0*VW + vc0
v_cmp_lt_u32 s[52:53], v4, s[sgprSizeI]            // coord0 < size0
v_cmp_lt_u32 s[56:57], v1, s[sgprSizeJ]            // coord1 < size1
s_and_b64 s[56:57], s[52:53], s[56:57]             // in0 && in1
_v_add_lshl_u32 v77, v3, v4, 0x1                   // scaleToBpe: accumulate d0 lower and *= bpe into Cin addr
v_cndmask_b32 v77, -1, v77, s[56:57]               // LDD clip if OOB. offset
/* (d1,vc1,d0,vc0)=(6,2,0,0) */
_v_add_co_u32 v1, vcc, v1, 1                       // coord1.1: coord1Vgpr += d1*sg1*VW + vc1

/* Fix for UseInitialStridesCD, emitAddressSetupCode */
_v_add_u32 v2, v2, s[sgprStrideC1J]                // ROWINC- Move cinRowPtr to next row
_v_add_u32 v3, v3, s[sgprStrideD1J]                // Move coutRowPtr to next row
	;; [unrolled: 34-line block ×3, first 2 shown]
v_cmp_lt_u32 s[52:53], v0, s[sgprSizeI]            // coord0 < size0
v_cmp_lt_u32 s[56:57], v1, s[sgprSizeJ]            // coord1 < size1
s_and_b64 s[56:57], s[52:53], s[56:57]             // in0 && in1
_v_add_lshl_u32 v94, v3, v0, 0x1                   // scaleToBpe: accumulate d0 lower and *= bpe into Cin addr
v_cndmask_b32 v94, -1, v94, s[56:57]               // LDD clip if OOB. offset
/* (d1,vc1,d0,vc0)=(6,3,1,0) */
_v_add_co_u32 v4, vcc, v0, 64                      // coord0.1: coord0 += d0*sg0*VW + vc0
v_cmp_lt_u32 s[52:53], v4, s[sgprSizeI]            // coord0 < size0
v_cmp_lt_u32 s[56:57], v1, s[sgprSizeJ]            // coord1 < size1
s_and_b64 s[56:57], s[52:53], s[56:57]             // in0 && in1
_v_add_lshl_u32 v95, v3, v4, 0x1                   // scaleToBpe: accumulate d0 lower and *= bpe into Cin addr
v_cndmask_b32 v95, -1, v95, s[56:57]               // LDD clip if OOB. offset
/* (d1,vc1,d0,vc0)=(6,3,2,0) */
s_mov_b32 s52, 128                                 // coordOffset0 d0=2 vc0=0
_v_add_co_u32 v4, vcc, v0, s52                     // coord0.2: coord0 += d0*sg0*VW + vc0
v_cmp_lt_u32 s[52:53], v4, s[sgprSizeI]            // coord0 < size0
v_cmp_lt_u32 s[56:57], v1, s[sgprSizeJ]            // coord1 < size1
s_and_b64 s[56:57], s[52:53], s[56:57]             // in0 && in1
_v_add_lshl_u32 v100, v3, v4, 0x1                  // scaleToBpe: accumulate d0 lower and *= bpe into Cin addr
v_cndmask_b32 v100, -1, v100, s[56:57]             // LDD clip if OOB. offset
/* (d1,vc1,d0,vc0)=(6,3,3,0) */
s_mov_b32 s52, 192                                 // coordOffset0 d0=3 vc0=0
_v_add_co_u32 v4, vcc, v0, s52                     // coord0.2: coord0 += d0*sg0*VW + vc0
v_cmp_lt_u32 s[52:53], v4, s[sgprSizeI]            // coord0 < size0
v_cmp_lt_u32 s[56:57], v1, s[sgprSizeJ]            // coord1 < size1
s_and_b64 s[56:57], s[52:53], s[56:57]             // in0 && in1
_v_add_lshl_u32 v101, v3, v4, 0x1                  // scaleToBpe: accumulate d0 lower and *= bpe into Cin addr
v_cndmask_b32 v101, -1, v101, s[56:57]             // LDD clip if OOB. offset
/* (d1,vc1,d0,vc0)=(7,0,0,0) */
_v_add_co_u32 v1, vcc, v1, 29                      // coord1.1: coord1Vgpr += d1*sg1*VW + vc1

/* Fix for UseInitialStridesCD, emitAddressSetupCode */
s_mul_i32 s52, s[sgprStrideC1J], 29                // scale stride
_v_add_u32 v2, v2, s52                             // ROWINC- Move cinRowPtr to next row
s_mul_i32 s52, s[sgprStrideD1J], 29                // scale stride
_v_add_u32 v3, v3, s52                             // Move coutRowPtr to next row
v_cmp_lt_u32 s[52:53], v0, s[sgprSizeI]            // coord0 < size0
v_cmp_lt_u32 s[56:57], v1, s[sgprSizeJ]            // coord1 < size1
s_and_b64 s[56:57], s[52:53], s[56:57]             // in0 && in1
_v_add_lshl_u32 v106, v3, v0, 0x1                  // scaleToBpe: accumulate d0 lower and *= bpe into Cin addr
v_cndmask_b32 v106, -1, v106, s[56:57]             // LDD clip if OOB. offset
/* (d1,vc1,d0,vc0)=(7,0,1,0) */
_v_add_co_u32 v4, vcc, v0, 64                      // coord0.1: coord0 += d0*sg0*VW + vc0
v_cmp_lt_u32 s[52:53], v4, s[sgprSizeI]            // coord0 < size0
v_cmp_lt_u32 s[56:57], v1, s[sgprSizeJ]            // coord1 < size1
s_and_b64 s[56:57], s[52:53], s[56:57]             // in0 && in1
_v_add_lshl_u32 v107, v3, v4, 0x1                  // scaleToBpe: accumulate d0 lower and *= bpe into Cin addr
v_cndmask_b32 v107, -1, v107, s[56:57]             // LDD clip if OOB. offset
/* (d1,vc1,d0,vc0)=(7,0,2,0) */
s_mov_b32 s52, 128                                 // coordOffset0 d0=2 vc0=0
_v_add_co_u32 v4, vcc, v0, s52                     // coord0.2: coord0 += d0*sg0*VW + vc0
v_cmp_lt_u32 s[52:53], v4, s[sgprSizeI]            // coord0 < size0
v_cmp_lt_u32 s[56:57], v1, s[sgprSizeJ]            // coord1 < size1
s_and_b64 s[56:57], s[52:53], s[56:57]             // in0 && in1
_v_add_lshl_u32 v112, v3, v4, 0x1                  // scaleToBpe: accumulate d0 lower and *= bpe into Cin addr
v_cndmask_b32 v112, -1, v112, s[56:57]             // LDD clip if OOB. offset
/* (d1,vc1,d0,vc0)=(7,0,3,0) */
s_mov_b32 s52, 192                                 // coordOffset0 d0=3 vc0=0
_v_add_co_u32 v4, vcc, v0, s52                     // coord0.2: coord0 += d0*sg0*VW + vc0
v_cmp_lt_u32 s[52:53], v4, s[sgprSizeI]            // coord0 < size0
v_cmp_lt_u32 s[56:57], v1, s[sgprSizeJ]            // coord1 < size1
s_and_b64 s[56:57], s[52:53], s[56:57]             // in0 && in1
_v_add_lshl_u32 v113, v3, v4, 0x1                  // scaleToBpe: accumulate d0 lower and *= bpe into Cin addr
v_cndmask_b32 v113, -1, v113, s[56:57]             // LDD clip if OOB. offset
/* (d1,vc1,d0,vc0)=(7,1,0,0) */
_v_add_co_u32 v1, vcc, v1, 1                       // coord1.1: coord1Vgpr += d1*sg1*VW + vc1

/* Fix for UseInitialStridesCD, emitAddressSetupCode */
_v_add_u32 v2, v2, s[sgprStrideC1J]                // ROWINC- Move cinRowPtr to next row
_v_add_u32 v3, v3, s[sgprStrideD1J]                // Move coutRowPtr to next row
v_cmp_lt_u32 s[52:53], v0, s[sgprSizeI]            // coord0 < size0
v_cmp_lt_u32 s[56:57], v1, s[sgprSizeJ]            // coord1 < size1
s_and_b64 s[56:57], s[52:53], s[56:57]             // in0 && in1
_v_add_lshl_u32 v118, v3, v0, 0x1                  // scaleToBpe: accumulate d0 lower and *= bpe into Cin addr
v_cndmask_b32 v118, -1, v118, s[56:57]             // LDD clip if OOB. offset
/* (d1,vc1,d0,vc0)=(7,1,1,0) */
_v_add_co_u32 v4, vcc, v0, 64                      // coord0.1: coord0 += d0*sg0*VW + vc0
v_cmp_lt_u32 s[52:53], v4, s[sgprSizeI]            // coord0 < size0
v_cmp_lt_u32 s[56:57], v1, s[sgprSizeJ]            // coord1 < size1
s_and_b64 s[56:57], s[52:53], s[56:57]             // in0 && in1
_v_add_lshl_u32 v119, v3, v4, 0x1                  // scaleToBpe: accumulate d0 lower and *= bpe into Cin addr
v_cndmask_b32 v119, -1, v119, s[56:57]             // LDD clip if OOB. offset
/* (d1,vc1,d0,vc0)=(7,1,2,0) */
s_mov_b32 s52, 128                                 // coordOffset0 d0=2 vc0=0
_v_add_co_u32 v4, vcc, v0, s52                     // coord0.2: coord0 += d0*sg0*VW + vc0
v_cmp_lt_u32 s[52:53], v4, s[sgprSizeI]            // coord0 < size0
v_cmp_lt_u32 s[56:57], v1, s[sgprSizeJ]            // coord1 < size1
s_and_b64 s[56:57], s[52:53], s[56:57]             // in0 && in1
_v_add_lshl_u32 v124, v3, v4, 0x1                  // scaleToBpe: accumulate d0 lower and *= bpe into Cin addr
v_cndmask_b32 v124, -1, v124, s[56:57]             // LDD clip if OOB. offset
/* (d1,vc1,d0,vc0)=(7,1,3,0) */
s_mov_b32 s52, 192                                 // coordOffset0 d0=3 vc0=0
_v_add_co_u32 v4, vcc, v0, s52                     // coord0.2: coord0 += d0*sg0*VW + vc0
v_cmp_lt_u32 s[52:53], v4, s[sgprSizeI]            // coord0 < size0
v_cmp_lt_u32 s[56:57], v1, s[sgprSizeJ]            // coord1 < size1
s_and_b64 s[56:57], s[52:53], s[56:57]             // in0 && in1
_v_add_lshl_u32 v125, v3, v4, 0x1                  // scaleToBpe: accumulate d0 lower and *= bpe into Cin addr
v_cndmask_b32 v125, -1, v125, s[56:57]             // LDD clip if OOB. offset
/* (d1,vc1,d0,vc0)=(7,2,0,0) */
_v_add_co_u32 v1, vcc, v1, 1                       // coord1.1: coord1Vgpr += d1*sg1*VW + vc1

/* Fix for UseInitialStridesCD, emitAddressSetupCode */
_v_add_u32 v2, v2, s[sgprStrideC1J]                // ROWINC- Move cinRowPtr to next row
_v_add_u32 v3, v3, s[sgprStrideD1J]                // Move coutRowPtr to next row
	;; [unrolled: 34-line block ×3, first 2 shown]
v_cmp_lt_u32 s[52:53], v0, s[sgprSizeI]            // coord0 < size0
v_cmp_lt_u32 s[56:57], v1, s[sgprSizeJ]            // coord1 < size1
s_and_b64 s[56:57], s[52:53], s[56:57]             // in0 && in1
_v_add_lshl_u32 v142, v3, v0, 0x1                  // scaleToBpe: accumulate d0 lower and *= bpe into Cin addr
v_cndmask_b32 v142, -1, v142, s[56:57]             // LDD clip if OOB. offset
/* (d1,vc1,d0,vc0)=(7,3,1,0) */
_v_add_co_u32 v4, vcc, v0, 64                      // coord0.1: coord0 += d0*sg0*VW + vc0
v_cmp_lt_u32 s[52:53], v4, s[sgprSizeI]            // coord0 < size0
v_cmp_lt_u32 s[56:57], v1, s[sgprSizeJ]            // coord1 < size1
s_and_b64 s[56:57], s[52:53], s[56:57]             // in0 && in1
_v_add_lshl_u32 v143, v3, v4, 0x1                  // scaleToBpe: accumulate d0 lower and *= bpe into Cin addr
v_cndmask_b32 v143, -1, v143, s[56:57]             // LDD clip if OOB. offset
/* (d1,vc1,d0,vc0)=(7,3,2,0) */
s_mov_b32 s52, 128                                 // coordOffset0 d0=2 vc0=0
_v_add_co_u32 v4, vcc, v0, s52                     // coord0.2: coord0 += d0*sg0*VW + vc0
v_cmp_lt_u32 s[52:53], v4, s[sgprSizeI]            // coord0 < size0
v_cmp_lt_u32 s[56:57], v1, s[sgprSizeJ]            // coord1 < size1
s_and_b64 s[56:57], s[52:53], s[56:57]             // in0 && in1
_v_add_lshl_u32 v151, v3, v4, 0x1                  // scaleToBpe: accumulate d0 lower and *= bpe into Cin addr
v_cndmask_b32 v151, -1, v151, s[56:57]             // LDD clip if OOB. offset
/* (d1,vc1,d0,vc0)=(7,3,3,0) */
s_mov_b32 s52, 192                                 // coordOffset0 d0=3 vc0=0
_v_add_co_u32 v4, vcc, v0, s52                     // coord0.2: coord0 += d0*sg0*VW + vc0
v_cmp_lt_u32 s[52:53], v4, s[sgprSizeI]            // coord0 < size0
v_cmp_lt_u32 s[56:57], v1, s[sgprSizeJ]            // coord1 < size1
s_and_b64 s[56:57], s[52:53], s[56:57]             // in0 && in1
_v_add_lshl_u32 v154, v3, v4, 0x1                  // scaleToBpe: accumulate d0 lower and *= bpe into Cin addr
v_cndmask_b32 v154, -1, v154, s[56:57]             // LDD clip if OOB. offset
v_accvgpr_read_b32 v[vgprValuC+12], acc160 // copy acc to vreg[160]
v_accvgpr_read_b32 v[vgprValuC+13], acc164 // copy acc to vreg[161]
v_accvgpr_read_b32 v[vgprValuC+14], acc168 // copy acc to vreg[162]
v_accvgpr_read_b32 v[vgprValuC+15], acc172 // copy acc to vreg[163]
v_accvgpr_read_b32 v[vgprValuC+18], acc176 // copy acc to vreg[164]
v_accvgpr_read_b32 v[vgprValuC+19], acc180 // copy acc to vreg[165]
v_accvgpr_read_b32 v[vgprValuC+20], acc184 // copy acc to vreg[166]
v_accvgpr_read_b32 v[vgprValuC+21], acc188 // copy acc to vreg[167]
v_accvgpr_read_b32 v[vgprValuC+24], acc161 // copy acc to vreg[168]
v_accvgpr_read_b32 v[vgprValuC+25], acc165 // copy acc to vreg[169]
v_accvgpr_read_b32 v[vgprValuC+26], acc169 // copy acc to vreg[170]
v_accvgpr_read_b32 v[vgprValuC+27], acc173 // copy acc to vreg[171]
v_accvgpr_read_b32 v[vgprValuC+30], acc177 // copy acc to vreg[172]
v_accvgpr_read_b32 v[vgprValuC+31], acc181 // copy acc to vreg[173]
v_accvgpr_read_b32 v[vgprValuC+32], acc185 // copy acc to vreg[174]
v_accvgpr_read_b32 v[vgprValuC+33], acc189 // copy acc to vreg[175]
v_accvgpr_read_b32 v[vgprValuC+36], acc162 // copy acc to vreg[176]
v_accvgpr_read_b32 v[vgprValuC+37], acc166 // copy acc to vreg[177]
v_accvgpr_read_b32 v[vgprValuC+38], acc170 // copy acc to vreg[178]
v_accvgpr_read_b32 v[vgprValuC+39], acc174 // copy acc to vreg[179]
v_accvgpr_read_b32 v[vgprValuC+42], acc178 // copy acc to vreg[180]
v_accvgpr_read_b32 v[vgprValuC+43], acc182 // copy acc to vreg[181]
v_accvgpr_read_b32 v[vgprValuC+44], acc186 // copy acc to vreg[182]
v_accvgpr_read_b32 v[vgprValuC+45], acc190 // copy acc to vreg[183]
v_accvgpr_read_b32 v[vgprValuC+48], acc163 // copy acc to vreg[184]
v_accvgpr_read_b32 v[vgprValuC+49], acc167 // copy acc to vreg[185]
v_accvgpr_read_b32 v[vgprValuC+50], acc171 // copy acc to vreg[186]
v_accvgpr_read_b32 v[vgprValuC+51], acc175 // copy acc to vreg[187]
v_accvgpr_read_b32 v[vgprValuC+54], acc179 // copy acc to vreg[188]
v_accvgpr_read_b32 v[vgprValuC+55], acc183 // copy acc to vreg[189]
v_accvgpr_read_b32 v[vgprValuC+56], acc187 // copy acc to vreg[190]
v_accvgpr_read_b32 v[vgprValuC+57], acc191 // copy acc to vreg[191]
v_accvgpr_read_b32 v[vgprValuC+60], acc192 // copy acc to vreg[192]
v_accvgpr_read_b32 v[vgprValuC+61], acc196 // copy acc to vreg[193]
v_accvgpr_read_b32 v[vgprValuC+62], acc200 // copy acc to vreg[194]
v_accvgpr_read_b32 v[vgprValuC+63], acc204 // copy acc to vreg[195]
v_accvgpr_read_b32 v[vgprValuC+66], acc208 // copy acc to vreg[196]
v_accvgpr_read_b32 v[vgprValuC+67], acc212 // copy acc to vreg[197]
v_accvgpr_read_b32 v[vgprValuC+68], acc216 // copy acc to vreg[198]
v_accvgpr_read_b32 v[vgprValuC+69], acc220 // copy acc to vreg[199]
v_accvgpr_read_b32 v[vgprValuC+72], acc193 // copy acc to vreg[200]
v_accvgpr_read_b32 v[vgprValuC+73], acc197 // copy acc to vreg[201]
v_accvgpr_read_b32 v[vgprValuC+74], acc201 // copy acc to vreg[202]
v_accvgpr_read_b32 v[vgprValuC+75], acc205 // copy acc to vreg[203]
v_accvgpr_read_b32 v[vgprValuC+78], acc209 // copy acc to vreg[204]
v_accvgpr_read_b32 v[vgprValuC+79], acc213 // copy acc to vreg[205]
v_accvgpr_read_b32 v[vgprValuC+80], acc217 // copy acc to vreg[206]
v_accvgpr_read_b32 v[vgprValuC+81], acc221 // copy acc to vreg[207]
v_accvgpr_read_b32 v[vgprValuC+84], acc194 // copy acc to vreg[208]
v_accvgpr_read_b32 v[vgprValuC+85], acc198 // copy acc to vreg[209]
v_accvgpr_read_b32 v[vgprValuC+86], acc202 // copy acc to vreg[210]
v_accvgpr_read_b32 v[vgprValuC+87], acc206 // copy acc to vreg[211]
v_accvgpr_read_b32 v[vgprValuC+90], acc210 // copy acc to vreg[212]
v_accvgpr_read_b32 v[vgprValuC+91], acc214 // copy acc to vreg[213]
v_accvgpr_read_b32 v[vgprValuC+92], acc218 // copy acc to vreg[214]
v_accvgpr_read_b32 v[vgprValuC+93], acc222 // copy acc to vreg[215]
v_accvgpr_read_b32 v[vgprValuC+96], acc195 // copy acc to vreg[216]
v_accvgpr_read_b32 v[vgprValuC+97], acc199 // copy acc to vreg[217]
v_accvgpr_read_b32 v[vgprValuC+98], acc203 // copy acc to vreg[218]
v_accvgpr_read_b32 v[vgprValuC+99], acc207 // copy acc to vreg[219]
v_accvgpr_read_b32 v[vgprValuC+102], acc211 // copy acc to vreg[220]
v_accvgpr_read_b32 v[vgprValuC+103], acc215 // copy acc to vreg[221]
v_accvgpr_read_b32 v[vgprValuC+104], acc219 // copy acc to vreg[222]
v_accvgpr_read_b32 v[vgprValuC+105], acc223 // copy acc to vreg[223]
v_accvgpr_read_b32 v[vgprValuC+108], acc224 // copy acc to vreg[224]
v_accvgpr_read_b32 v[vgprValuC+109], acc228 // copy acc to vreg[225]
v_accvgpr_read_b32 v[vgprValuC+110], acc232 // copy acc to vreg[226]
v_accvgpr_read_b32 v[vgprValuC+111], acc236 // copy acc to vreg[227]
v_accvgpr_read_b32 v[vgprValuC+114], acc240 // copy acc to vreg[228]
v_accvgpr_read_b32 v[vgprValuC+115], acc244 // copy acc to vreg[229]
v_accvgpr_read_b32 v[vgprValuC+116], acc248 // copy acc to vreg[230]
v_accvgpr_read_b32 v[vgprValuC+117], acc252 // copy acc to vreg[231]
v_accvgpr_read_b32 v[vgprValuC+120], acc225 // copy acc to vreg[232]
v_accvgpr_read_b32 v[vgprValuC+121], acc229 // copy acc to vreg[233]
v_accvgpr_read_b32 v[vgprValuC+122], acc233 // copy acc to vreg[234]
v_accvgpr_read_b32 v[vgprValuC+123], acc237 // copy acc to vreg[235]
v_accvgpr_read_b32 v[vgprValuC+126], acc241 // copy acc to vreg[236]
v_accvgpr_read_b32 v[vgprValuC+127], acc245 // copy acc to vreg[237]
v_accvgpr_read_b32 v[vgprValuC+128], acc249 // copy acc to vreg[238]
v_accvgpr_read_b32 v[vgprValuC+129], acc253 // copy acc to vreg[239]
v_accvgpr_read_b32 v[vgprValuC+132], acc226 // copy acc to vreg[240]
v_accvgpr_read_b32 v[vgprValuC+133], acc230 // copy acc to vreg[241]
v_accvgpr_read_b32 v[vgprValuC+134], acc234 // copy acc to vreg[242]
v_accvgpr_read_b32 v[vgprValuC+135], acc238 // copy acc to vreg[243]
v_accvgpr_read_b32 v[vgprValuC+138], acc242 // copy acc to vreg[244]
v_accvgpr_read_b32 v[vgprValuC+139], acc246 // copy acc to vreg[245]
v_accvgpr_read_b32 v[vgprValuC+140], acc250 // copy acc to vreg[246]
v_accvgpr_read_b32 v[vgprValuC+141], acc254 // copy acc to vreg[247]
v_accvgpr_read_b32 v[vgprValuC+144], acc227 // copy acc to vreg[248]
v_accvgpr_read_b32 v[vgprValuC+145], acc231 // copy acc to vreg[249]
v_accvgpr_read_b32 v[vgprValuC+146], acc235 // copy acc to vreg[250]
v_accvgpr_read_b32 v[vgprValuC+147], acc239 // copy acc to vreg[251]
v_accvgpr_read_b32 v[vgprValuC+152], acc243 // copy acc to vreg[252]
v_accvgpr_read_b32 v[vgprValuC+153], acc247 // copy acc to vreg[253]
v_accvgpr_read_b32 v[vgprValuC+156], acc251 // copy acc to vreg[254]
v_accvgpr_read_b32 v[vgprValuC+157], acc255 // copy acc to vreg[255]
s_nop 1                                            // 2 wait states required before reading vgpr

/* rC *= alpha batchElements=[(5, 0, 0, 0), (5, 1, 0, 0), (5, 2, 0, 0), (5, 3, 0, 0), (5, 0, 1, 0), (5, 1, 1, 0), (5, 2, 1, 0), (5, 3, 1, 0), (5, 0, 2, 0), (5, 1, 2, 0), (5, 2, 2, 0), (5, 3, 2, 0), (5, 0, 3, 0), (5, 1, 3, 0), (5, 2, 3, 0), (5, 3, 3, 0), (6, 0, 0, 0), (6, 1, 0, 0), (6, 2, 0, 0), (6, 3, 0, 0), (6, 0, 1, 0), (6, 1, 1, 0), (6, 2, 1, 0), (6, 3, 1, 0), (6, 0, 2, 0), (6, 1, 2, 0), (6, 2, 2, 0), (6, 3, 2, 0), (6, 0, 3, 0), (6, 1, 3, 0), (6, 2, 3, 0), (6, 3, 3, 0), (7, 0, 0, 0), (7, 1, 0, 0), (7, 2, 0, 0), (7, 3, 0, 0), (7, 0, 1, 0), (7, 1, 1, 0), (7, 2, 1, 0), (7, 3, 1, 0), (7, 0, 2, 0), (7, 1, 2, 0), (7, 2, 2, 0), (7, 3, 2, 0), (7, 0, 3, 0), (7, 1, 3, 0), (7, 2, 3, 0), (7, 3, 3, 0)] */
v_mul_f32 v[vgprValuC+12], s[sgprAlpha], v[vgprValuC+12] // *= alpha
v_mul_f32 v[vgprValuC+13], s[sgprAlpha], v[vgprValuC+13] // *= alpha
	;; [unrolled: 1-line block ×96, first 2 shown]

/* apply mask, calc new C and issue writes */
v_mov_b32 v7, 0xffff0000                           // mask for pack two bfloat16 element to 32bit
v_mov_b32 v8, 0x7fff0000                           // fp32 Nan
v_mov_b32 v9, 0x7fff                               // rounding bias for bfloat16
v_cmp_u_f32 s[52:53], v[vgprValuC+12], v[vgprValuC+12] // check Nan
v_bfe_u32 v6, v[vgprValuC+12], 16, 1               // Non-Nan case: store lsb of bf16
v_add3_u32 v6, v[vgprValuC+12], v6, v9             // Non-Nan case: add lsb and the increment for rounding
v_cndmask_b32 v[vgprValuC+12], v6, v8, s[52:53]    // 
v_lshrrev_b32 v[vgprValuC+12], 16, v[vgprValuC+12] // convert C to bf16
v_cmp_u_f32 s[52:53], v[vgprValuC+13], v[vgprValuC+13] // check Nan
v_bfe_u32 v6, v[vgprValuC+13], 16, 1               // Non-Nan case: store lsb of bf16
v_add3_u32 v6, v[vgprValuC+13], v6, v9             // Non-Nan case: add lsb and the increment for rounding
v_cndmask_b32 v[vgprValuC+13], v6, v8, s[52:53]    // 
v_and_or_b32 v12, v[vgprValuC+13], v7, v[vgprValuC+12] // pack two bf16 to dword
_buffer_store_b32 v12, v10, s[sgprSrdD:sgprSrdD+3], 0, offen, offset:0,  sc0 sc1 // store D
v_cmp_u_f32 s[52:53], v[vgprValuC+14], v[vgprValuC+14] // check Nan
v_bfe_u32 v6, v[vgprValuC+14], 16, 1               // Non-Nan case: store lsb of bf16
v_add3_u32 v6, v[vgprValuC+14], v6, v9             // Non-Nan case: add lsb and the increment for rounding
v_cndmask_b32 v[vgprValuC+14], v6, v8, s[52:53]    // 
v_lshrrev_b32 v[vgprValuC+14], 16, v[vgprValuC+14] // convert C to bf16
v_cmp_u_f32 s[52:53], v[vgprValuC+15], v[vgprValuC+15] // check Nan
v_bfe_u32 v6, v[vgprValuC+15], 16, 1               // Non-Nan case: store lsb of bf16
v_add3_u32 v6, v[vgprValuC+15], v6, v9             // Non-Nan case: add lsb and the increment for rounding
v_cndmask_b32 v[vgprValuC+15], v6, v8, s[52:53]    // 
v_and_or_b32 v14, v[vgprValuC+15], v7, v[vgprValuC+14] // pack two bf16 to dword
_buffer_store_b32 v14, v11, s[sgprSrdD:sgprSrdD+3], 0, offen, offset:0,  sc0 sc1 // store D
	;; [unrolled: 11-line block ×30, first 2 shown]
v_cmp_u_f32 s[52:53], v[vgprValuC+102], v[vgprValuC+102] // check Nan
v_bfe_u32 v6, v[vgprValuC+102], 16, 1              // Non-Nan case: store lsb of bf16
v_add3_u32 v6, v[vgprValuC+102], v6, v9            // Non-Nan case: add lsb and the increment for rounding
v_cndmask_b32 v[vgprValuC+102], v6, v8, s[52:53]   // 
v_lshrrev_b32 v[vgprValuC+102], 16, v[vgprValuC+102] // convert C to bf16
v_cmp_u_f32 s[52:53], v[vgprValuC+103], v[vgprValuC+103] // check Nan
v_bfe_u32 v6, v[vgprValuC+103], 16, 1              // Non-Nan case: store lsb of bf16
v_add3_u32 v6, v[vgprValuC+103], v6, v9            // Non-Nan case: add lsb and the increment for rounding
v_cndmask_b32 v[vgprValuC+103], v6, v8, s[52:53]   // 
v_and_or_b32 v102, v[vgprValuC+103], v7, v[vgprValuC+102] // pack two bf16 to dword
_buffer_store_b32 v102, v100, s[sgprSrdD:sgprSrdD+3], 0, offen, offset:0,  sc0 sc1 // store D
v_cmp_u_f32 s[52:53], v[vgprValuC+104], v[vgprValuC+104] // check Nan
v_bfe_u32 v6, v[vgprValuC+104], 16, 1              // Non-Nan case: store lsb of bf16
v_add3_u32 v6, v[vgprValuC+104], v6, v9            // Non-Nan case: add lsb and the increment for rounding
v_cndmask_b32 v[vgprValuC+104], v6, v8, s[52:53]   // 
v_lshrrev_b32 v[vgprValuC+104], 16, v[vgprValuC+104] // convert C to bf16
v_cmp_u_f32 s[52:53], v[vgprValuC+105], v[vgprValuC+105] // check Nan
v_bfe_u32 v6, v[vgprValuC+105], 16, 1              // Non-Nan case: store lsb of bf16
v_add3_u32 v6, v[vgprValuC+105], v6, v9            // Non-Nan case: add lsb and the increment for rounding
v_cndmask_b32 v[vgprValuC+105], v6, v8, s[52:53]   // 
v_and_or_b32 v104, v[vgprValuC+105], v7, v[vgprValuC+104] // pack two bf16 to dword
_buffer_store_b32 v104, v101, s[sgprSrdD:sgprSrdD+3], 0, offen, offset:0,  sc0 sc1 // store D
	;; [unrolled: 11-line block ×18, first 2 shown]
s_nop 0                                            // 1 wait state required when next inst writes vgprs held by previous dwordx4 store inst
s_branch label_GW_End_42                           // jump to end
GW_Beta_43:
s_and_b32 s52, 255, s[sgprSizeI]                   // s52 = s[sgprSizeI] % 256
s_add_u32 s53, -0x1, s[sgprNumWorkGroups0]         // 
s_cmp_ge_u32 s[sgprWorkGroup0], s53                // wg0 >= nwg0-1 ?
s_cselect_b32 s52, s52, 0                          // set rMT0
s_cmpk_gt_u32 s52, 0x0                             // rMT0 > 0
s_cbranch_scc1 GW_B1_E1_41                         // jump if edges required
s_and_b32 s52, 255, s[sgprSizeJ]                   // s52 = s[sgprSizeJ] % 256
s_add_u32 s53, -0x1, s[sgprNumWorkGroups1]         // 
s_cmp_ge_u32 s[sgprWorkGroup1], s53                // wg1 >= nwg1-1
s_cselect_b32 s52, s52, 0                          // set rMT1
s_cmpk_gt_u32 s52, 0x0                             // rMT1 > 0
s_cbranch_scc1 GW_B1_E1_41                         // jump if edges required
GW_B1_E0_38:

/* edge=0, allocate 2 sgpr. perBatchTmpS=2 perBatchMaskS=0 perElementMaskS=0 elementsPerBatch=78 */
/* optSingleColVgpr=1 optSharedColVgpr=0 optSGPRUsage=BufferLoad_Mask optSrdIncForRow=1 */

/******************************************/
/* Global Write Alpha Beta Batch #0 (d1,d0,vc1,vc0) = */
/*    (0,0,0,0:vw2); (0,1,0,0:vw2); (0,2,0,0:vw2); (0,3,0,0:vw2); (0,0,1,0:vw2); (0,1,1,0:vw2); (0,2,1,0:vw2); (0,3,1,0:vw2); (0,0,2,0:vw2); (0,1,2,0:vw2); (0,2,2,0:vw2); (0,3,2,0:vw2); (0,0,3,0:vw2); (0,1,3,0:vw2); (0,2,3,0:vw2); (0,3,3,0:vw2); (1,0,0,0:vw2); (1,1,0,0:vw2); (1,2,0,0:vw2); (1,3,0,0:vw2); (1,0,1,0:vw2); (1,1,1,0:vw2); (1,2,1,0:vw2); (1,3,1,0:vw2); (1,0,2,0:vw2); (1,1,2,0:vw2); (1,2,2,0:vw2); (1,3,2,0:vw2); (1,0,3,0:vw2); (1,1,3,0:vw2); (1,2,3,0:vw2); (1,3,3,0:vw2); (2,0,0,0:vw2); (2,1,0,0:vw2); (2,2,0,0:vw2); (2,3,0,0:vw2); (2,0,1,0:vw2); (2,1,1,0:vw2); (2,2,1,0:vw2); (2,3,1,0:vw2); (2,0,2,0:vw2); (2,1,2,0:vw2); (2,2,2,0:vw2); (2,3,2,0:vw2); (2,0,3,0:vw2); (2,1,3,0:vw2); (2,2,3,0:vw2); (2,3,3,0:vw2); (3,0,0,0:vw2); (3,1,0,0:vw2); (3,2,0,0:vw2); (3,3,0,0:vw2); (3,0,1,0:vw2); (3,1,1,0:vw2); (3,2,1,0:vw2); (3,3,1,0:vw2); (3,0,2,0:vw2); (3,1,2,0:vw2); (3,2,2,0:vw2); (3,3,2,0:vw2); (3,0,3,0:vw2); (3,1,3,0:vw2); (3,2,3,0:vw2); (3,3,3,0:vw2); (4,0,0,0:vw2); (4,1,0,0:vw2); (4,2,0,0:vw2); (4,3,0,0:vw2); (4,0,1,0:vw2); (4,1,1,0:vw2); (4,2,1,0:vw2); (4,3,1,0:vw2); (4,0,2,0:vw2); (4,1,2,0:vw2); (4,2,2,0:vw2); (4,3,2,0:vw2); (4,0,3,0:vw2); (4,1,3,0:vw2) */
/******************************************/

/* calc coords, apply mask, and issue loads (if necessary) */
/* (d1,vc1,d0,vc0)=(0,0,0,0) */
_v_add_lshl_u32 v11, v2, v0, 0x1                   // optSingleColVgpr scaleToBpe: sharedAddrVgpr <- cinRowPtr + coord0, scaled by BPE. BSHERE:coord0=0, coord0Vgpr=0
_buffer_load_b32 v12, v11, s[sgprSrdC:sgprSrdC+3], 0, offen offset:0,  sc0 sc1 // load C for beta calc
/* (d1,vc1,d0,vc0)=(0,0,1,0) */
_buffer_load_b32 v13, v11, s[sgprSrdC:sgprSrdC+3], 0, offen offset:128,  sc0 sc1 // load C for beta calc
/* (d1,vc1,d0,vc0)=(0,0,2,0) */
_buffer_load_b32 v18, v11, s[sgprSrdC:sgprSrdC+3], 0, offen offset:256,  sc0 sc1 // load C for beta calc
/* (d1,vc1,d0,vc0)=(0,0,3,0) */
_buffer_load_b32 v19, v11, s[sgprSrdC:sgprSrdC+3], 0, offen offset:384,  sc0 sc1 // load C for beta calc
/* (d1,vc1,d0,vc0)=(0,1,0,0) */
s_lshl_b32  s52, s[sgprStrideC1J], 1               // incToNextRow: Scale by BPE
s_add_u32  s[sgprSrdC+0], s[sgprSrdC+0], s52       // incToNextRow: gra SRD += inc(lower)
s_addc_u32  s[sgprSrdC+1], s[sgprSrdC+1], 0        // incToNextRow: gra SRD += inc(upper)
_buffer_load_b32 v24, v11, s[sgprSrdC:sgprSrdC+3], 0, offen offset:0,  sc0 sc1 // load C for beta calc
/* (d1,vc1,d0,vc0)=(0,1,1,0) */
_buffer_load_b32 v25, v11, s[sgprSrdC:sgprSrdC+3], 0, offen offset:128,  sc0 sc1 // load C for beta calc
/* (d1,vc1,d0,vc0)=(0,1,2,0) */
_buffer_load_b32 v30, v11, s[sgprSrdC:sgprSrdC+3], 0, offen offset:256,  sc0 sc1 // load C for beta calc
/* (d1,vc1,d0,vc0)=(0,1,3,0) */
_buffer_load_b32 v31, v11, s[sgprSrdC:sgprSrdC+3], 0, offen offset:384,  sc0 sc1 // load C for beta calc
/* (d1,vc1,d0,vc0)=(0,2,0,0) */
s_lshl_b32  s52, s[sgprStrideC1J], 1               // incToNextRow: Scale by BPE
s_add_u32  s[sgprSrdC+0], s[sgprSrdC+0], s52       // incToNextRow: gra SRD += inc(lower)
s_addc_u32  s[sgprSrdC+1], s[sgprSrdC+1], 0        // incToNextRow: gra SRD += inc(upper)
_buffer_load_b32 v36, v11, s[sgprSrdC:sgprSrdC+3], 0, offen offset:0,  sc0 sc1 // load C for beta calc
/* (d1,vc1,d0,vc0)=(0,2,1,0) */
_buffer_load_b32 v37, v11, s[sgprSrdC:sgprSrdC+3], 0, offen offset:128,  sc0 sc1 // load C for beta calc
/* (d1,vc1,d0,vc0)=(0,2,2,0) */
_buffer_load_b32 v42, v11, s[sgprSrdC:sgprSrdC+3], 0, offen offset:256,  sc0 sc1 // load C for beta calc
/* (d1,vc1,d0,vc0)=(0,2,3,0) */
_buffer_load_b32 v43, v11, s[sgprSrdC:sgprSrdC+3], 0, offen offset:384,  sc0 sc1 // load C for beta calc
/* (d1,vc1,d0,vc0)=(0,3,0,0) */
s_lshl_b32  s52, s[sgprStrideC1J], 1               // incToNextRow: Scale by BPE
s_add_u32  s[sgprSrdC+0], s[sgprSrdC+0], s52       // incToNextRow: gra SRD += inc(lower)
s_addc_u32  s[sgprSrdC+1], s[sgprSrdC+1], 0        // incToNextRow: gra SRD += inc(upper)
_buffer_load_b32 v48, v11, s[sgprSrdC:sgprSrdC+3], 0, offen offset:0,  sc0 sc1 // load C for beta calc
/* (d1,vc1,d0,vc0)=(0,3,1,0) */
_buffer_load_b32 v49, v11, s[sgprSrdC:sgprSrdC+3], 0, offen offset:128,  sc0 sc1 // load C for beta calc
/* (d1,vc1,d0,vc0)=(0,3,2,0) */
_buffer_load_b32 v54, v11, s[sgprSrdC:sgprSrdC+3], 0, offen offset:256,  sc0 sc1 // load C for beta calc
/* (d1,vc1,d0,vc0)=(0,3,3,0) */
_buffer_load_b32 v55, v11, s[sgprSrdC:sgprSrdC+3], 0, offen offset:384,  sc0 sc1 // load C for beta calc
/* (d1,vc1,d0,vc0)=(1,0,0,0) */
s_mul_i32 s52, s[sgprStrideC1J], 58                // scale StrideC *= numRows(29) * bpe
s_add_u32  s[sgprSrdC+0], s[sgprSrdC+0], s52       // incToNextRow: gra SRD += inc(lower)
s_addc_u32  s[sgprSrdC+1], s[sgprSrdC+1], 0        // incToNextRow: gra SRD += inc(upper)
_buffer_load_b32 v60, v11, s[sgprSrdC:sgprSrdC+3], 0, offen offset:0,  sc0 sc1 // load C for beta calc
/* (d1,vc1,d0,vc0)=(1,0,1,0) */
_buffer_load_b32 v61, v11, s[sgprSrdC:sgprSrdC+3], 0, offen offset:128,  sc0 sc1 // load C for beta calc
/* (d1,vc1,d0,vc0)=(1,0,2,0) */
_buffer_load_b32 v66, v11, s[sgprSrdC:sgprSrdC+3], 0, offen offset:256,  sc0 sc1 // load C for beta calc
/* (d1,vc1,d0,vc0)=(1,0,3,0) */
_buffer_load_b32 v67, v11, s[sgprSrdC:sgprSrdC+3], 0, offen offset:384,  sc0 sc1 // load C for beta calc
/* (d1,vc1,d0,vc0)=(1,1,0,0) */
s_lshl_b32  s52, s[sgprStrideC1J], 1               // incToNextRow: Scale by BPE
s_add_u32  s[sgprSrdC+0], s[sgprSrdC+0], s52       // incToNextRow: gra SRD += inc(lower)
s_addc_u32  s[sgprSrdC+1], s[sgprSrdC+1], 0        // incToNextRow: gra SRD += inc(upper)
_buffer_load_b32 v72, v11, s[sgprSrdC:sgprSrdC+3], 0, offen offset:0,  sc0 sc1 // load C for beta calc
/* (d1,vc1,d0,vc0)=(1,1,1,0) */
_buffer_load_b32 v73, v11, s[sgprSrdC:sgprSrdC+3], 0, offen offset:128,  sc0 sc1 // load C for beta calc
/* (d1,vc1,d0,vc0)=(1,1,2,0) */
_buffer_load_b32 v78, v11, s[sgprSrdC:sgprSrdC+3], 0, offen offset:256,  sc0 sc1 // load C for beta calc
/* (d1,vc1,d0,vc0)=(1,1,3,0) */
_buffer_load_b32 v79, v11, s[sgprSrdC:sgprSrdC+3], 0, offen offset:384,  sc0 sc1 // load C for beta calc
/* (d1,vc1,d0,vc0)=(1,2,0,0) */
s_lshl_b32  s52, s[sgprStrideC1J], 1               // incToNextRow: Scale by BPE
s_add_u32  s[sgprSrdC+0], s[sgprSrdC+0], s52       // incToNextRow: gra SRD += inc(lower)
s_addc_u32  s[sgprSrdC+1], s[sgprSrdC+1], 0        // incToNextRow: gra SRD += inc(upper)
_buffer_load_b32 v84, v11, s[sgprSrdC:sgprSrdC+3], 0, offen offset:0,  sc0 sc1 // load C for beta calc
/* (d1,vc1,d0,vc0)=(1,2,1,0) */
_buffer_load_b32 v85, v11, s[sgprSrdC:sgprSrdC+3], 0, offen offset:128,  sc0 sc1 // load C for beta calc
/* (d1,vc1,d0,vc0)=(1,2,2,0) */
_buffer_load_b32 v90, v11, s[sgprSrdC:sgprSrdC+3], 0, offen offset:256,  sc0 sc1 // load C for beta calc
/* (d1,vc1,d0,vc0)=(1,2,3,0) */
_buffer_load_b32 v91, v11, s[sgprSrdC:sgprSrdC+3], 0, offen offset:384,  sc0 sc1 // load C for beta calc
/* (d1,vc1,d0,vc0)=(1,3,0,0) */
s_lshl_b32  s52, s[sgprStrideC1J], 1               // incToNextRow: Scale by BPE
s_add_u32  s[sgprSrdC+0], s[sgprSrdC+0], s52       // incToNextRow: gra SRD += inc(lower)
s_addc_u32  s[sgprSrdC+1], s[sgprSrdC+1], 0        // incToNextRow: gra SRD += inc(upper)
_buffer_load_b32 v96, v11, s[sgprSrdC:sgprSrdC+3], 0, offen offset:0,  sc0 sc1 // load C for beta calc
/* (d1,vc1,d0,vc0)=(1,3,1,0) */
_buffer_load_b32 v97, v11, s[sgprSrdC:sgprSrdC+3], 0, offen offset:128,  sc0 sc1 // load C for beta calc
/* (d1,vc1,d0,vc0)=(1,3,2,0) */
_buffer_load_b32 v102, v11, s[sgprSrdC:sgprSrdC+3], 0, offen offset:256,  sc0 sc1 // load C for beta calc
/* (d1,vc1,d0,vc0)=(1,3,3,0) */
_buffer_load_b32 v103, v11, s[sgprSrdC:sgprSrdC+3], 0, offen offset:384,  sc0 sc1 // load C for beta calc
/* (d1,vc1,d0,vc0)=(2,0,0,0) */
s_mul_i32 s52, s[sgprStrideC1J], 58                // scale StrideC *= numRows(29) * bpe
s_add_u32  s[sgprSrdC+0], s[sgprSrdC+0], s52       // incToNextRow: gra SRD += inc(lower)
s_addc_u32  s[sgprSrdC+1], s[sgprSrdC+1], 0        // incToNextRow: gra SRD += inc(upper)
	;; [unrolled: 44-line block ×4, first 2 shown]
_buffer_load_b32 v205, v11, s[sgprSrdC:sgprSrdC+3], 0, offen offset:0,  sc0 sc1 // load C for beta calc
/* (d1,vc1,d0,vc0)=(4,0,1,0) */
_buffer_load_b32 v210, v11, s[sgprSrdC:sgprSrdC+3], 0, offen offset:128,  sc0 sc1 // load C for beta calc
/* (d1,vc1,d0,vc0)=(4,0,2,0) */
_buffer_load_b32 v211, v11, s[sgprSrdC:sgprSrdC+3], 0, offen offset:256,  sc0 sc1 // load C for beta calc
/* (d1,vc1,d0,vc0)=(4,0,3,0) */
_buffer_load_b32 v216, v11, s[sgprSrdC:sgprSrdC+3], 0, offen offset:384,  sc0 sc1 // load C for beta calc
/* (d1,vc1,d0,vc0)=(4,1,0,0) */
s_lshl_b32  s52, s[sgprStrideC1J], 1               // incToNextRow: Scale by BPE
s_add_u32  s[sgprSrdC+0], s[sgprSrdC+0], s52       // incToNextRow: gra SRD += inc(lower)
s_addc_u32  s[sgprSrdC+1], s[sgprSrdC+1], 0        // incToNextRow: gra SRD += inc(upper)
_buffer_load_b32 v217, v11, s[sgprSrdC:sgprSrdC+3], 0, offen offset:0,  sc0 sc1 // load C for beta calc
/* (d1,vc1,d0,vc0)=(4,1,1,0) */
_buffer_load_b32 v222, v11, s[sgprSrdC:sgprSrdC+3], 0, offen offset:128,  sc0 sc1 // load C for beta calc
/* (d1,vc1,d0,vc0)=(4,1,2,0) */
_buffer_load_b32 v223, v11, s[sgprSrdC:sgprSrdC+3], 0, offen offset:256,  sc0 sc1 // load C for beta calc
/* (d1,vc1,d0,vc0)=(4,1,3,0) */
_buffer_load_b32 v228, v11, s[sgprSrdC:sgprSrdC+3], 0, offen offset:384,  sc0 sc1 // load C for beta calc
/* (d1,vc1,d0,vc0)=(4,2,0,0) */
s_lshl_b32  s52, s[sgprStrideC1J], 1               // incToNextRow: Scale by BPE
s_add_u32  s[sgprSrdC+0], s[sgprSrdC+0], s52       // incToNextRow: gra SRD += inc(lower)
s_addc_u32  s[sgprSrdC+1], s[sgprSrdC+1], 0        // incToNextRow: gra SRD += inc(upper)
	;; [unrolled: 11-line block ×3, first 2 shown]
_buffer_load_b32 v241, v11, s[sgprSrdC:sgprSrdC+3], 0, offen offset:0,  sc0 sc1 // load C for beta calc
/* (d1,vc1,d0,vc0)=(4,3,1,0) */
_buffer_load_b32 v246, v11, s[sgprSrdC:sgprSrdC+3], 0, offen offset:128,  sc0 sc1 // load C for beta calc
_v_add_lshl_u32 v10, v3, v0, 0x1                   // optSingleColVgpr scaleToBpe: sharedAddrVgpr <- cinRowPtr + coord0, scaled by BPE. BSHERE:coord0=0, coord0Vgpr=0
v_accvgpr_read_b32 v[vgprValuC+14], acc0 // copy acc to vreg[0]
v_accvgpr_read_b32 v[vgprValuC+15], acc4 // copy acc to vreg[1]
v_accvgpr_read_b32 v[vgprValuC+16], acc8 // copy acc to vreg[2]
v_accvgpr_read_b32 v[vgprValuC+17], acc12 // copy acc to vreg[3]
v_accvgpr_read_b32 v[vgprValuC+20], acc16 // copy acc to vreg[4]
v_accvgpr_read_b32 v[vgprValuC+21], acc20 // copy acc to vreg[5]
v_accvgpr_read_b32 v[vgprValuC+22], acc24 // copy acc to vreg[6]
v_accvgpr_read_b32 v[vgprValuC+23], acc28 // copy acc to vreg[7]
v_accvgpr_read_b32 v[vgprValuC+26], acc1 // copy acc to vreg[8]
v_accvgpr_read_b32 v[vgprValuC+27], acc5 // copy acc to vreg[9]
v_accvgpr_read_b32 v[vgprValuC+28], acc9 // copy acc to vreg[10]
v_accvgpr_read_b32 v[vgprValuC+29], acc13 // copy acc to vreg[11]
v_accvgpr_read_b32 v[vgprValuC+32], acc17 // copy acc to vreg[12]
v_accvgpr_read_b32 v[vgprValuC+33], acc21 // copy acc to vreg[13]
v_accvgpr_read_b32 v[vgprValuC+34], acc25 // copy acc to vreg[14]
v_accvgpr_read_b32 v[vgprValuC+35], acc29 // copy acc to vreg[15]
v_accvgpr_read_b32 v[vgprValuC+38], acc2 // copy acc to vreg[16]
v_accvgpr_read_b32 v[vgprValuC+39], acc6 // copy acc to vreg[17]
v_accvgpr_read_b32 v[vgprValuC+40], acc10 // copy acc to vreg[18]
v_accvgpr_read_b32 v[vgprValuC+41], acc14 // copy acc to vreg[19]
v_accvgpr_read_b32 v[vgprValuC+44], acc18 // copy acc to vreg[20]
v_accvgpr_read_b32 v[vgprValuC+45], acc22 // copy acc to vreg[21]
v_accvgpr_read_b32 v[vgprValuC+46], acc26 // copy acc to vreg[22]
v_accvgpr_read_b32 v[vgprValuC+47], acc30 // copy acc to vreg[23]
v_accvgpr_read_b32 v[vgprValuC+50], acc3 // copy acc to vreg[24]
v_accvgpr_read_b32 v[vgprValuC+51], acc7 // copy acc to vreg[25]
v_accvgpr_read_b32 v[vgprValuC+52], acc11 // copy acc to vreg[26]
v_accvgpr_read_b32 v[vgprValuC+53], acc15 // copy acc to vreg[27]
v_accvgpr_read_b32 v[vgprValuC+56], acc19 // copy acc to vreg[28]
v_accvgpr_read_b32 v[vgprValuC+57], acc23 // copy acc to vreg[29]
v_accvgpr_read_b32 v[vgprValuC+58], acc27 // copy acc to vreg[30]
v_accvgpr_read_b32 v[vgprValuC+59], acc31 // copy acc to vreg[31]
v_accvgpr_read_b32 v[vgprValuC+62], acc32 // copy acc to vreg[32]
v_accvgpr_read_b32 v[vgprValuC+63], acc36 // copy acc to vreg[33]
v_accvgpr_read_b32 v[vgprValuC+64], acc40 // copy acc to vreg[34]
v_accvgpr_read_b32 v[vgprValuC+65], acc44 // copy acc to vreg[35]
v_accvgpr_read_b32 v[vgprValuC+68], acc48 // copy acc to vreg[36]
v_accvgpr_read_b32 v[vgprValuC+69], acc52 // copy acc to vreg[37]
v_accvgpr_read_b32 v[vgprValuC+70], acc56 // copy acc to vreg[38]
v_accvgpr_read_b32 v[vgprValuC+71], acc60 // copy acc to vreg[39]
v_accvgpr_read_b32 v[vgprValuC+74], acc33 // copy acc to vreg[40]
v_accvgpr_read_b32 v[vgprValuC+75], acc37 // copy acc to vreg[41]
v_accvgpr_read_b32 v[vgprValuC+76], acc41 // copy acc to vreg[42]
v_accvgpr_read_b32 v[vgprValuC+77], acc45 // copy acc to vreg[43]
v_accvgpr_read_b32 v[vgprValuC+80], acc49 // copy acc to vreg[44]
v_accvgpr_read_b32 v[vgprValuC+81], acc53 // copy acc to vreg[45]
v_accvgpr_read_b32 v[vgprValuC+82], acc57 // copy acc to vreg[46]
v_accvgpr_read_b32 v[vgprValuC+83], acc61 // copy acc to vreg[47]
v_accvgpr_read_b32 v[vgprValuC+86], acc34 // copy acc to vreg[48]
v_accvgpr_read_b32 v[vgprValuC+87], acc38 // copy acc to vreg[49]
v_accvgpr_read_b32 v[vgprValuC+88], acc42 // copy acc to vreg[50]
v_accvgpr_read_b32 v[vgprValuC+89], acc46 // copy acc to vreg[51]
v_accvgpr_read_b32 v[vgprValuC+92], acc50 // copy acc to vreg[52]
v_accvgpr_read_b32 v[vgprValuC+93], acc54 // copy acc to vreg[53]
v_accvgpr_read_b32 v[vgprValuC+94], acc58 // copy acc to vreg[54]
v_accvgpr_read_b32 v[vgprValuC+95], acc62 // copy acc to vreg[55]
v_accvgpr_read_b32 v[vgprValuC+98], acc35 // copy acc to vreg[56]
v_accvgpr_read_b32 v[vgprValuC+99], acc39 // copy acc to vreg[57]
v_accvgpr_read_b32 v[vgprValuC+100], acc43 // copy acc to vreg[58]
v_accvgpr_read_b32 v[vgprValuC+101], acc47 // copy acc to vreg[59]
v_accvgpr_read_b32 v[vgprValuC+104], acc51 // copy acc to vreg[60]
v_accvgpr_read_b32 v[vgprValuC+105], acc55 // copy acc to vreg[61]
v_accvgpr_read_b32 v[vgprValuC+106], acc59 // copy acc to vreg[62]
v_accvgpr_read_b32 v[vgprValuC+107], acc63 // copy acc to vreg[63]
v_accvgpr_read_b32 v[vgprValuC+110], acc64 // copy acc to vreg[64]
v_accvgpr_read_b32 v[vgprValuC+111], acc68 // copy acc to vreg[65]
v_accvgpr_read_b32 v[vgprValuC+112], acc72 // copy acc to vreg[66]
v_accvgpr_read_b32 v[vgprValuC+113], acc76 // copy acc to vreg[67]
v_accvgpr_read_b32 v[vgprValuC+116], acc80 // copy acc to vreg[68]
v_accvgpr_read_b32 v[vgprValuC+117], acc84 // copy acc to vreg[69]
v_accvgpr_read_b32 v[vgprValuC+118], acc88 // copy acc to vreg[70]
v_accvgpr_read_b32 v[vgprValuC+119], acc92 // copy acc to vreg[71]
v_accvgpr_read_b32 v[vgprValuC+122], acc65 // copy acc to vreg[72]
v_accvgpr_read_b32 v[vgprValuC+123], acc69 // copy acc to vreg[73]
v_accvgpr_read_b32 v[vgprValuC+124], acc73 // copy acc to vreg[74]
v_accvgpr_read_b32 v[vgprValuC+125], acc77 // copy acc to vreg[75]
v_accvgpr_read_b32 v[vgprValuC+128], acc81 // copy acc to vreg[76]
v_accvgpr_read_b32 v[vgprValuC+129], acc85 // copy acc to vreg[77]
v_accvgpr_read_b32 v[vgprValuC+130], acc89 // copy acc to vreg[78]
v_accvgpr_read_b32 v[vgprValuC+131], acc93 // copy acc to vreg[79]
v_accvgpr_read_b32 v[vgprValuC+134], acc66 // copy acc to vreg[80]
v_accvgpr_read_b32 v[vgprValuC+135], acc70 // copy acc to vreg[81]
v_accvgpr_read_b32 v[vgprValuC+136], acc74 // copy acc to vreg[82]
v_accvgpr_read_b32 v[vgprValuC+137], acc78 // copy acc to vreg[83]
v_accvgpr_read_b32 v[vgprValuC+140], acc82 // copy acc to vreg[84]
v_accvgpr_read_b32 v[vgprValuC+141], acc86 // copy acc to vreg[85]
v_accvgpr_read_b32 v[vgprValuC+142], acc90 // copy acc to vreg[86]
v_accvgpr_read_b32 v[vgprValuC+143], acc94 // copy acc to vreg[87]
v_accvgpr_read_b32 v[vgprValuC+146], acc67 // copy acc to vreg[88]
v_accvgpr_read_b32 v[vgprValuC+147], acc71 // copy acc to vreg[89]
v_accvgpr_read_b32 v[vgprValuC+152], acc75 // copy acc to vreg[90]
v_accvgpr_read_b32 v[vgprValuC+153], acc79 // copy acc to vreg[91]
v_accvgpr_read_b32 v[vgprValuC+154], acc83 // copy acc to vreg[92]
v_accvgpr_read_b32 v[vgprValuC+155], acc87 // copy acc to vreg[93]
v_accvgpr_read_b32 v[vgprValuC+158], acc91 // copy acc to vreg[94]
v_accvgpr_read_b32 v[vgprValuC+159], acc95 // copy acc to vreg[95]
v_accvgpr_read_b32 v[vgprValuC+160], acc96 // copy acc to vreg[96]
v_accvgpr_read_b32 v[vgprValuC+161], acc100 // copy acc to vreg[97]
v_accvgpr_read_b32 v[vgprValuC+164], acc104 // copy acc to vreg[98]
v_accvgpr_read_b32 v[vgprValuC+165], acc108 // copy acc to vreg[99]
v_accvgpr_read_b32 v[vgprValuC+166], acc112 // copy acc to vreg[100]
v_accvgpr_read_b32 v[vgprValuC+167], acc116 // copy acc to vreg[101]
v_accvgpr_read_b32 v[vgprValuC+170], acc120 // copy acc to vreg[102]
v_accvgpr_read_b32 v[vgprValuC+171], acc124 // copy acc to vreg[103]
v_accvgpr_read_b32 v[vgprValuC+172], acc97 // copy acc to vreg[104]
v_accvgpr_read_b32 v[vgprValuC+173], acc101 // copy acc to vreg[105]
v_accvgpr_read_b32 v[vgprValuC+176], acc105 // copy acc to vreg[106]
v_accvgpr_read_b32 v[vgprValuC+177], acc109 // copy acc to vreg[107]
v_accvgpr_read_b32 v[vgprValuC+178], acc113 // copy acc to vreg[108]
v_accvgpr_read_b32 v[vgprValuC+179], acc117 // copy acc to vreg[109]
v_accvgpr_read_b32 v[vgprValuC+182], acc121 // copy acc to vreg[110]
v_accvgpr_read_b32 v[vgprValuC+183], acc125 // copy acc to vreg[111]
v_accvgpr_read_b32 v[vgprValuC+184], acc98 // copy acc to vreg[112]
v_accvgpr_read_b32 v[vgprValuC+185], acc102 // copy acc to vreg[113]
v_accvgpr_read_b32 v[vgprValuC+188], acc106 // copy acc to vreg[114]
v_accvgpr_read_b32 v[vgprValuC+189], acc110 // copy acc to vreg[115]
v_accvgpr_read_b32 v[vgprValuC+190], acc114 // copy acc to vreg[116]
v_accvgpr_read_b32 v[vgprValuC+191], acc118 // copy acc to vreg[117]
v_accvgpr_read_b32 v[vgprValuC+194], acc122 // copy acc to vreg[118]
v_accvgpr_read_b32 v[vgprValuC+195], acc126 // copy acc to vreg[119]
v_accvgpr_read_b32 v[vgprValuC+196], acc99 // copy acc to vreg[120]
v_accvgpr_read_b32 v[vgprValuC+197], acc103 // copy acc to vreg[121]
v_accvgpr_read_b32 v[vgprValuC+200], acc107 // copy acc to vreg[122]
v_accvgpr_read_b32 v[vgprValuC+201], acc111 // copy acc to vreg[123]
v_accvgpr_read_b32 v[vgprValuC+202], acc115 // copy acc to vreg[124]
v_accvgpr_read_b32 v[vgprValuC+203], acc119 // copy acc to vreg[125]
v_accvgpr_read_b32 v[vgprValuC+206], acc123 // copy acc to vreg[126]
v_accvgpr_read_b32 v[vgprValuC+207], acc127 // copy acc to vreg[127]
v_accvgpr_read_b32 v[vgprValuC+208], acc128 // copy acc to vreg[128]
v_accvgpr_read_b32 v[vgprValuC+209], acc132 // copy acc to vreg[129]
v_accvgpr_read_b32 v[vgprValuC+212], acc136 // copy acc to vreg[130]
v_accvgpr_read_b32 v[vgprValuC+213], acc140 // copy acc to vreg[131]
v_accvgpr_read_b32 v[vgprValuC+214], acc144 // copy acc to vreg[132]
v_accvgpr_read_b32 v[vgprValuC+215], acc148 // copy acc to vreg[133]
v_accvgpr_read_b32 v[vgprValuC+218], acc152 // copy acc to vreg[134]
v_accvgpr_read_b32 v[vgprValuC+219], acc156 // copy acc to vreg[135]
v_accvgpr_read_b32 v[vgprValuC+220], acc129 // copy acc to vreg[136]
v_accvgpr_read_b32 v[vgprValuC+221], acc133 // copy acc to vreg[137]
v_accvgpr_read_b32 v[vgprValuC+224], acc137 // copy acc to vreg[138]
v_accvgpr_read_b32 v[vgprValuC+225], acc141 // copy acc to vreg[139]
v_accvgpr_read_b32 v[vgprValuC+226], acc145 // copy acc to vreg[140]
v_accvgpr_read_b32 v[vgprValuC+227], acc149 // copy acc to vreg[141]
v_accvgpr_read_b32 v[vgprValuC+230], acc153 // copy acc to vreg[142]
v_accvgpr_read_b32 v[vgprValuC+231], acc157 // copy acc to vreg[143]
v_accvgpr_read_b32 v[vgprValuC+232], acc130 // copy acc to vreg[144]
v_accvgpr_read_b32 v[vgprValuC+233], acc134 // copy acc to vreg[145]
v_accvgpr_read_b32 v[vgprValuC+236], acc138 // copy acc to vreg[146]
v_accvgpr_read_b32 v[vgprValuC+237], acc142 // copy acc to vreg[147]
v_accvgpr_read_b32 v[vgprValuC+238], acc146 // copy acc to vreg[148]
v_accvgpr_read_b32 v[vgprValuC+239], acc150 // copy acc to vreg[149]
v_accvgpr_read_b32 v[vgprValuC+242], acc154 // copy acc to vreg[150]
v_accvgpr_read_b32 v[vgprValuC+243], acc158 // copy acc to vreg[151]
v_accvgpr_read_b32 v[vgprValuC+244], acc131 // copy acc to vreg[152]
v_accvgpr_read_b32 v[vgprValuC+245], acc135 // copy acc to vreg[153]
v_accvgpr_read_b32 v[vgprValuC+248], acc139 // copy acc to vreg[154]
v_accvgpr_read_b32 v[vgprValuC+249], acc143 // copy acc to vreg[155]
s_nop 1                                            // 2 wait states required before reading vgpr

/* rC *= alpha batchElements=[(0, 0, 0, 0), (0, 1, 0, 0), (0, 2, 0, 0), (0, 3, 0, 0), (0, 0, 1, 0), (0, 1, 1, 0), (0, 2, 1, 0), (0, 3, 1, 0), (0, 0, 2, 0), (0, 1, 2, 0), (0, 2, 2, 0), (0, 3, 2, 0), (0, 0, 3, 0), (0, 1, 3, 0), (0, 2, 3, 0), (0, 3, 3, 0), (1, 0, 0, 0), (1, 1, 0, 0), (1, 2, 0, 0), (1, 3, 0, 0), (1, 0, 1, 0), (1, 1, 1, 0), (1, 2, 1, 0), (1, 3, 1, 0), (1, 0, 2, 0), (1, 1, 2, 0), (1, 2, 2, 0), (1, 3, 2, 0), (1, 0, 3, 0), (1, 1, 3, 0), (1, 2, 3, 0), (1, 3, 3, 0), (2, 0, 0, 0), (2, 1, 0, 0), (2, 2, 0, 0), (2, 3, 0, 0), (2, 0, 1, 0), (2, 1, 1, 0), (2, 2, 1, 0), (2, 3, 1, 0), (2, 0, 2, 0), (2, 1, 2, 0), (2, 2, 2, 0), (2, 3, 2, 0), (2, 0, 3, 0), (2, 1, 3, 0), (2, 2, 3, 0), (2, 3, 3, 0), (3, 0, 0, 0), (3, 1, 0, 0), (3, 2, 0, 0), (3, 3, 0, 0), (3, 0, 1, 0), (3, 1, 1, 0), (3, 2, 1, 0), (3, 3, 1, 0), (3, 0, 2, 0), (3, 1, 2, 0), (3, 2, 2, 0), (3, 3, 2, 0), (3, 0, 3, 0), (3, 1, 3, 0), (3, 2, 3, 0), (3, 3, 3, 0), (4, 0, 0, 0), (4, 1, 0, 0), (4, 2, 0, 0), (4, 3, 0, 0), (4, 0, 1, 0), (4, 1, 1, 0), (4, 2, 1, 0), (4, 3, 1, 0), (4, 0, 2, 0), (4, 1, 2, 0), (4, 2, 2, 0), (4, 3, 2, 0), (4, 0, 3, 0), (4, 1, 3, 0)] */
v_mul_f32 v[vgprValuC+14], s[sgprAlpha], v[vgprValuC+14] // *= alpha
v_mul_f32 v[vgprValuC+15], s[sgprAlpha], v[vgprValuC+15] // *= alpha
	;; [unrolled: 1-line block ×156, first 2 shown]

/* apply mask, calc new C and issue writes */
v_mov_b32 v7, 0xffff0000                           // mask for pack two bfloat16 element to 32bit
v_mov_b32 v8, 0x7fff0000                           // fp32 Nan
v_mov_b32 v9, 0x7fff                               // rounding bias for bfloat16

s_waitcnt vmcnt(63)                                // wait C (interleaved) 77 = 78 - 0 + 0 - 1
v_lshlrev_b32 v4, 16, v12                          // convert bf16 to fp32
_v_mac_f32 v[vgprValuC+14], v4, s[sgprBeta]        // finalSum = sum*alpha + C*beta
v_and_b32 v4, v12, v7                              // convert bf16 to fp32
_v_mac_f32 v[vgprValuC+15], v4, s[sgprBeta]        // finalSum = sum*alpha + C*beta
v_cmp_u_f32 s[52:53], v[vgprValuC+14], v[vgprValuC+14] // check Nan
v_bfe_u32 v6, v[vgprValuC+14], 16, 1               // Non-Nan case: store lsb of bf16
v_add3_u32 v6, v[vgprValuC+14], v6, v9             // Non-Nan case: add lsb and the increment for rounding
v_cndmask_b32 v[vgprValuC+14], v6, v8, s[52:53]    // 
v_lshrrev_b32 v[vgprValuC+14], 16, v[vgprValuC+14] // convert C to bf16
v_cmp_u_f32 s[52:53], v[vgprValuC+15], v[vgprValuC+15] // check Nan
v_bfe_u32 v6, v[vgprValuC+15], 16, 1               // Non-Nan case: store lsb of bf16
v_add3_u32 v6, v[vgprValuC+15], v6, v9             // Non-Nan case: add lsb and the increment for rounding
v_cndmask_b32 v[vgprValuC+15], v6, v8, s[52:53]    // 
v_and_or_b32 v14, v[vgprValuC+15], v7, v[vgprValuC+14] // pack two bf16 to dword
_buffer_store_b32 v14, v10, s[sgprSrdD:sgprSrdD+3], 0, offen, offset:0,  sc0 sc1 // store D

s_waitcnt vmcnt(63)                                // wait C (interleaved) 77 = 78 - 1 + 1 - 1
v_lshlrev_b32 v4, 16, v13                          // convert bf16 to fp32
_v_mac_f32 v[vgprValuC+16], v4, s[sgprBeta]        // finalSum = sum*alpha + C*beta
v_and_b32 v4, v13, v7                              // convert bf16 to fp32
_v_mac_f32 v[vgprValuC+17], v4, s[sgprBeta]        // finalSum = sum*alpha + C*beta
v_cmp_u_f32 s[52:53], v[vgprValuC+16], v[vgprValuC+16] // check Nan
v_bfe_u32 v6, v[vgprValuC+16], 16, 1               // Non-Nan case: store lsb of bf16
v_add3_u32 v6, v[vgprValuC+16], v6, v9             // Non-Nan case: add lsb and the increment for rounding
v_cndmask_b32 v[vgprValuC+16], v6, v8, s[52:53]    // 
v_lshrrev_b32 v[vgprValuC+16], 16, v[vgprValuC+16] // convert C to bf16
v_cmp_u_f32 s[52:53], v[vgprValuC+17], v[vgprValuC+17] // check Nan
v_bfe_u32 v6, v[vgprValuC+17], 16, 1               // Non-Nan case: store lsb of bf16
v_add3_u32 v6, v[vgprValuC+17], v6, v9             // Non-Nan case: add lsb and the increment for rounding
v_cndmask_b32 v[vgprValuC+17], v6, v8, s[52:53]    // 
v_and_or_b32 v16, v[vgprValuC+17], v7, v[vgprValuC+16] // pack two bf16 to dword
_buffer_store_b32 v16, v10, s[sgprSrdD:sgprSrdD+3], 0, offen, offset:128,  sc0 sc1 // store D
	;; [unrolled: 17-line block ×4, first 2 shown]

s_waitcnt vmcnt(63)                                // wait C (interleaved) 77 = 78 - 4 + 4 - 1
v_lshlrev_b32 v4, 16, v24                          // convert bf16 to fp32
_v_mac_f32 v[vgprValuC+26], v4, s[sgprBeta]        // finalSum = sum*alpha + C*beta
v_and_b32 v4, v24, v7                              // convert bf16 to fp32
_v_mac_f32 v[vgprValuC+27], v4, s[sgprBeta]        // finalSum = sum*alpha + C*beta
v_cmp_u_f32 s[52:53], v[vgprValuC+26], v[vgprValuC+26] // check Nan
v_bfe_u32 v6, v[vgprValuC+26], 16, 1               // Non-Nan case: store lsb of bf16
v_add3_u32 v6, v[vgprValuC+26], v6, v9             // Non-Nan case: add lsb and the increment for rounding
v_cndmask_b32 v[vgprValuC+26], v6, v8, s[52:53]    // 
v_lshrrev_b32 v[vgprValuC+26], 16, v[vgprValuC+26] // convert C to bf16
v_cmp_u_f32 s[52:53], v[vgprValuC+27], v[vgprValuC+27] // check Nan
v_bfe_u32 v6, v[vgprValuC+27], 16, 1               // Non-Nan case: store lsb of bf16
v_add3_u32 v6, v[vgprValuC+27], v6, v9             // Non-Nan case: add lsb and the increment for rounding
v_cndmask_b32 v[vgprValuC+27], v6, v8, s[52:53]    // 
v_and_or_b32 v26, v[vgprValuC+27], v7, v[vgprValuC+26] // pack two bf16 to dword
s_lshl_b32  s52, s[sgprStrideD1J], 1               // incToNextRow: Scale by BPE
s_add_u32  s[sgprSrdD+0], s[sgprSrdD+0], s52       // incToNextRow: gra SRD += inc(lower)
s_addc_u32  s[sgprSrdD+1], s[sgprSrdD+1], 0        // incToNextRow: gra SRD += inc(upper)
_buffer_store_b32 v26, v10, s[sgprSrdD:sgprSrdD+3], 0, offen, offset:0,  sc0 sc1 // store D

s_waitcnt vmcnt(63)                                // wait C (interleaved) 77 = 78 - 5 + 5 - 1
v_lshlrev_b32 v4, 16, v25                          // convert bf16 to fp32
_v_mac_f32 v[vgprValuC+28], v4, s[sgprBeta]        // finalSum = sum*alpha + C*beta
v_and_b32 v4, v25, v7                              // convert bf16 to fp32
_v_mac_f32 v[vgprValuC+29], v4, s[sgprBeta]        // finalSum = sum*alpha + C*beta
v_cmp_u_f32 s[52:53], v[vgprValuC+28], v[vgprValuC+28] // check Nan
v_bfe_u32 v6, v[vgprValuC+28], 16, 1               // Non-Nan case: store lsb of bf16
v_add3_u32 v6, v[vgprValuC+28], v6, v9             // Non-Nan case: add lsb and the increment for rounding
v_cndmask_b32 v[vgprValuC+28], v6, v8, s[52:53]    // 
v_lshrrev_b32 v[vgprValuC+28], 16, v[vgprValuC+28] // convert C to bf16
v_cmp_u_f32 s[52:53], v[vgprValuC+29], v[vgprValuC+29] // check Nan
v_bfe_u32 v6, v[vgprValuC+29], 16, 1               // Non-Nan case: store lsb of bf16
v_add3_u32 v6, v[vgprValuC+29], v6, v9             // Non-Nan case: add lsb and the increment for rounding
v_cndmask_b32 v[vgprValuC+29], v6, v8, s[52:53]    // 
v_and_or_b32 v28, v[vgprValuC+29], v7, v[vgprValuC+28] // pack two bf16 to dword
_buffer_store_b32 v28, v10, s[sgprSrdD:sgprSrdD+3], 0, offen, offset:128,  sc0 sc1 // store D

s_waitcnt vmcnt(63)                                // wait C (interleaved) 77 = 78 - 6 + 6 - 1
v_lshlrev_b32 v4, 16, v30                          // convert bf16 to fp32
_v_mac_f32 v[vgprValuC+32], v4, s[sgprBeta]        // finalSum = sum*alpha + C*beta
v_and_b32 v4, v30, v7                              // convert bf16 to fp32
_v_mac_f32 v[vgprValuC+33], v4, s[sgprBeta]        // finalSum = sum*alpha + C*beta
v_cmp_u_f32 s[52:53], v[vgprValuC+32], v[vgprValuC+32] // check Nan
v_bfe_u32 v6, v[vgprValuC+32], 16, 1               // Non-Nan case: store lsb of bf16
v_add3_u32 v6, v[vgprValuC+32], v6, v9             // Non-Nan case: add lsb and the increment for rounding
v_cndmask_b32 v[vgprValuC+32], v6, v8, s[52:53]    // 
v_lshrrev_b32 v[vgprValuC+32], 16, v[vgprValuC+32] // convert C to bf16
v_cmp_u_f32 s[52:53], v[vgprValuC+33], v[vgprValuC+33] // check Nan
v_bfe_u32 v6, v[vgprValuC+33], 16, 1               // Non-Nan case: store lsb of bf16
v_add3_u32 v6, v[vgprValuC+33], v6, v9             // Non-Nan case: add lsb and the increment for rounding
v_cndmask_b32 v[vgprValuC+33], v6, v8, s[52:53]    // 
v_and_or_b32 v32, v[vgprValuC+33], v7, v[vgprValuC+32] // pack two bf16 to dword
	;; [unrolled: 17-line block ×4, first 2 shown]
s_lshl_b32  s52, s[sgprStrideD1J], 1               // incToNextRow: Scale by BPE
s_add_u32  s[sgprSrdD+0], s[sgprSrdD+0], s52       // incToNextRow: gra SRD += inc(lower)
s_addc_u32  s[sgprSrdD+1], s[sgprSrdD+1], 0        // incToNextRow: gra SRD += inc(upper)
_buffer_store_b32 v38, v10, s[sgprSrdD:sgprSrdD+3], 0, offen, offset:0,  sc0 sc1 // store D

s_waitcnt vmcnt(63)                                // wait C (interleaved) 77 = 78 - 9 + 9 - 1
v_lshlrev_b32 v4, 16, v37                          // convert bf16 to fp32
_v_mac_f32 v[vgprValuC+40], v4, s[sgprBeta]        // finalSum = sum*alpha + C*beta
v_and_b32 v4, v37, v7                              // convert bf16 to fp32
_v_mac_f32 v[vgprValuC+41], v4, s[sgprBeta]        // finalSum = sum*alpha + C*beta
v_cmp_u_f32 s[52:53], v[vgprValuC+40], v[vgprValuC+40] // check Nan
v_bfe_u32 v6, v[vgprValuC+40], 16, 1               // Non-Nan case: store lsb of bf16
v_add3_u32 v6, v[vgprValuC+40], v6, v9             // Non-Nan case: add lsb and the increment for rounding
v_cndmask_b32 v[vgprValuC+40], v6, v8, s[52:53]    // 
v_lshrrev_b32 v[vgprValuC+40], 16, v[vgprValuC+40] // convert C to bf16
v_cmp_u_f32 s[52:53], v[vgprValuC+41], v[vgprValuC+41] // check Nan
v_bfe_u32 v6, v[vgprValuC+41], 16, 1               // Non-Nan case: store lsb of bf16
v_add3_u32 v6, v[vgprValuC+41], v6, v9             // Non-Nan case: add lsb and the increment for rounding
v_cndmask_b32 v[vgprValuC+41], v6, v8, s[52:53]    // 
v_and_or_b32 v40, v[vgprValuC+41], v7, v[vgprValuC+40] // pack two bf16 to dword
_buffer_store_b32 v40, v10, s[sgprSrdD:sgprSrdD+3], 0, offen, offset:128,  sc0 sc1 // store D

s_waitcnt vmcnt(63)                                // wait C (interleaved) 77 = 78 - 10 + 10 - 1
v_lshlrev_b32 v4, 16, v42                          // convert bf16 to fp32
_v_mac_f32 v[vgprValuC+44], v4, s[sgprBeta]        // finalSum = sum*alpha + C*beta
v_and_b32 v4, v42, v7                              // convert bf16 to fp32
_v_mac_f32 v[vgprValuC+45], v4, s[sgprBeta]        // finalSum = sum*alpha + C*beta
v_cmp_u_f32 s[52:53], v[vgprValuC+44], v[vgprValuC+44] // check Nan
v_bfe_u32 v6, v[vgprValuC+44], 16, 1               // Non-Nan case: store lsb of bf16
v_add3_u32 v6, v[vgprValuC+44], v6, v9             // Non-Nan case: add lsb and the increment for rounding
v_cndmask_b32 v[vgprValuC+44], v6, v8, s[52:53]    // 
v_lshrrev_b32 v[vgprValuC+44], 16, v[vgprValuC+44] // convert C to bf16
v_cmp_u_f32 s[52:53], v[vgprValuC+45], v[vgprValuC+45] // check Nan
v_bfe_u32 v6, v[vgprValuC+45], 16, 1               // Non-Nan case: store lsb of bf16
v_add3_u32 v6, v[vgprValuC+45], v6, v9             // Non-Nan case: add lsb and the increment for rounding
v_cndmask_b32 v[vgprValuC+45], v6, v8, s[52:53]    // 
v_and_or_b32 v44, v[vgprValuC+45], v7, v[vgprValuC+44] // pack two bf16 to dword
	;; [unrolled: 17-line block ×4, first 2 shown]
s_lshl_b32  s52, s[sgprStrideD1J], 1               // incToNextRow: Scale by BPE
s_add_u32  s[sgprSrdD+0], s[sgprSrdD+0], s52       // incToNextRow: gra SRD += inc(lower)
s_addc_u32  s[sgprSrdD+1], s[sgprSrdD+1], 0        // incToNextRow: gra SRD += inc(upper)
_buffer_store_b32 v50, v10, s[sgprSrdD:sgprSrdD+3], 0, offen, offset:0,  sc0 sc1 // store D

s_waitcnt vmcnt(63)                                // wait C (interleaved) 77 = 78 - 13 + 13 - 1
v_lshlrev_b32 v4, 16, v49                          // convert bf16 to fp32
_v_mac_f32 v[vgprValuC+52], v4, s[sgprBeta]        // finalSum = sum*alpha + C*beta
v_and_b32 v4, v49, v7                              // convert bf16 to fp32
_v_mac_f32 v[vgprValuC+53], v4, s[sgprBeta]        // finalSum = sum*alpha + C*beta
v_cmp_u_f32 s[52:53], v[vgprValuC+52], v[vgprValuC+52] // check Nan
v_bfe_u32 v6, v[vgprValuC+52], 16, 1               // Non-Nan case: store lsb of bf16
v_add3_u32 v6, v[vgprValuC+52], v6, v9             // Non-Nan case: add lsb and the increment for rounding
v_cndmask_b32 v[vgprValuC+52], v6, v8, s[52:53]    // 
v_lshrrev_b32 v[vgprValuC+52], 16, v[vgprValuC+52] // convert C to bf16
v_cmp_u_f32 s[52:53], v[vgprValuC+53], v[vgprValuC+53] // check Nan
v_bfe_u32 v6, v[vgprValuC+53], 16, 1               // Non-Nan case: store lsb of bf16
v_add3_u32 v6, v[vgprValuC+53], v6, v9             // Non-Nan case: add lsb and the increment for rounding
v_cndmask_b32 v[vgprValuC+53], v6, v8, s[52:53]    // 
v_and_or_b32 v52, v[vgprValuC+53], v7, v[vgprValuC+52] // pack two bf16 to dword
_buffer_store_b32 v52, v10, s[sgprSrdD:sgprSrdD+3], 0, offen, offset:128,  sc0 sc1 // store D

s_waitcnt vmcnt(63)                                // wait C (interleaved) 77 = 78 - 14 + 14 - 1
v_lshlrev_b32 v4, 16, v54                          // convert bf16 to fp32
_v_mac_f32 v[vgprValuC+56], v4, s[sgprBeta]        // finalSum = sum*alpha + C*beta
v_and_b32 v4, v54, v7                              // convert bf16 to fp32
_v_mac_f32 v[vgprValuC+57], v4, s[sgprBeta]        // finalSum = sum*alpha + C*beta
v_cmp_u_f32 s[52:53], v[vgprValuC+56], v[vgprValuC+56] // check Nan
v_bfe_u32 v6, v[vgprValuC+56], 16, 1               // Non-Nan case: store lsb of bf16
v_add3_u32 v6, v[vgprValuC+56], v6, v9             // Non-Nan case: add lsb and the increment for rounding
v_cndmask_b32 v[vgprValuC+56], v6, v8, s[52:53]    // 
v_lshrrev_b32 v[vgprValuC+56], 16, v[vgprValuC+56] // convert C to bf16
v_cmp_u_f32 s[52:53], v[vgprValuC+57], v[vgprValuC+57] // check Nan
v_bfe_u32 v6, v[vgprValuC+57], 16, 1               // Non-Nan case: store lsb of bf16
v_add3_u32 v6, v[vgprValuC+57], v6, v9             // Non-Nan case: add lsb and the increment for rounding
v_cndmask_b32 v[vgprValuC+57], v6, v8, s[52:53]    // 
v_and_or_b32 v56, v[vgprValuC+57], v7, v[vgprValuC+56] // pack two bf16 to dword
	;; [unrolled: 17-line block ×4, first 2 shown]
s_mul_i32 s52, s[sgprStrideD1J], 58                // scale StrideD *= numRows(29) * bpe
s_add_u32  s[sgprSrdD+0], s[sgprSrdD+0], s52       // incToNextRow: gra SRD += inc(lower)
s_addc_u32  s[sgprSrdD+1], s[sgprSrdD+1], 0        // incToNextRow: gra SRD += inc(upper)
_buffer_store_b32 v62, v10, s[sgprSrdD:sgprSrdD+3], 0, offen, offset:0,  sc0 sc1 // store D

s_waitcnt vmcnt(63)                                // wait C (interleaved) 77 = 78 - 17 + 17 - 1
v_lshlrev_b32 v4, 16, v61                          // convert bf16 to fp32
_v_mac_f32 v[vgprValuC+64], v4, s[sgprBeta]        // finalSum = sum*alpha + C*beta
v_and_b32 v4, v61, v7                              // convert bf16 to fp32
_v_mac_f32 v[vgprValuC+65], v4, s[sgprBeta]        // finalSum = sum*alpha + C*beta
v_cmp_u_f32 s[52:53], v[vgprValuC+64], v[vgprValuC+64] // check Nan
v_bfe_u32 v6, v[vgprValuC+64], 16, 1               // Non-Nan case: store lsb of bf16
v_add3_u32 v6, v[vgprValuC+64], v6, v9             // Non-Nan case: add lsb and the increment for rounding
v_cndmask_b32 v[vgprValuC+64], v6, v8, s[52:53]    // 
v_lshrrev_b32 v[vgprValuC+64], 16, v[vgprValuC+64] // convert C to bf16
v_cmp_u_f32 s[52:53], v[vgprValuC+65], v[vgprValuC+65] // check Nan
v_bfe_u32 v6, v[vgprValuC+65], 16, 1               // Non-Nan case: store lsb of bf16
v_add3_u32 v6, v[vgprValuC+65], v6, v9             // Non-Nan case: add lsb and the increment for rounding
v_cndmask_b32 v[vgprValuC+65], v6, v8, s[52:53]    // 
v_and_or_b32 v64, v[vgprValuC+65], v7, v[vgprValuC+64] // pack two bf16 to dword
_buffer_store_b32 v64, v10, s[sgprSrdD:sgprSrdD+3], 0, offen, offset:128,  sc0 sc1 // store D

s_waitcnt vmcnt(63)                                // wait C (interleaved) 77 = 78 - 18 + 18 - 1
v_lshlrev_b32 v4, 16, v66                          // convert bf16 to fp32
_v_mac_f32 v[vgprValuC+68], v4, s[sgprBeta]        // finalSum = sum*alpha + C*beta
v_and_b32 v4, v66, v7                              // convert bf16 to fp32
_v_mac_f32 v[vgprValuC+69], v4, s[sgprBeta]        // finalSum = sum*alpha + C*beta
v_cmp_u_f32 s[52:53], v[vgprValuC+68], v[vgprValuC+68] // check Nan
v_bfe_u32 v6, v[vgprValuC+68], 16, 1               // Non-Nan case: store lsb of bf16
v_add3_u32 v6, v[vgprValuC+68], v6, v9             // Non-Nan case: add lsb and the increment for rounding
v_cndmask_b32 v[vgprValuC+68], v6, v8, s[52:53]    // 
v_lshrrev_b32 v[vgprValuC+68], 16, v[vgprValuC+68] // convert C to bf16
v_cmp_u_f32 s[52:53], v[vgprValuC+69], v[vgprValuC+69] // check Nan
v_bfe_u32 v6, v[vgprValuC+69], 16, 1               // Non-Nan case: store lsb of bf16
v_add3_u32 v6, v[vgprValuC+69], v6, v9             // Non-Nan case: add lsb and the increment for rounding
v_cndmask_b32 v[vgprValuC+69], v6, v8, s[52:53]    // 
v_and_or_b32 v68, v[vgprValuC+69], v7, v[vgprValuC+68] // pack two bf16 to dword
	;; [unrolled: 17-line block ×4, first 2 shown]
s_lshl_b32  s52, s[sgprStrideD1J], 1               // incToNextRow: Scale by BPE
s_add_u32  s[sgprSrdD+0], s[sgprSrdD+0], s52       // incToNextRow: gra SRD += inc(lower)
s_addc_u32  s[sgprSrdD+1], s[sgprSrdD+1], 0        // incToNextRow: gra SRD += inc(upper)
_buffer_store_b32 v74, v10, s[sgprSrdD:sgprSrdD+3], 0, offen, offset:0,  sc0 sc1 // store D

s_waitcnt vmcnt(63)                                // wait C (interleaved) 77 = 78 - 21 + 21 - 1
v_lshlrev_b32 v4, 16, v73                          // convert bf16 to fp32
_v_mac_f32 v[vgprValuC+76], v4, s[sgprBeta]        // finalSum = sum*alpha + C*beta
v_and_b32 v4, v73, v7                              // convert bf16 to fp32
_v_mac_f32 v[vgprValuC+77], v4, s[sgprBeta]        // finalSum = sum*alpha + C*beta
v_cmp_u_f32 s[52:53], v[vgprValuC+76], v[vgprValuC+76] // check Nan
v_bfe_u32 v6, v[vgprValuC+76], 16, 1               // Non-Nan case: store lsb of bf16
v_add3_u32 v6, v[vgprValuC+76], v6, v9             // Non-Nan case: add lsb and the increment for rounding
v_cndmask_b32 v[vgprValuC+76], v6, v8, s[52:53]    // 
v_lshrrev_b32 v[vgprValuC+76], 16, v[vgprValuC+76] // convert C to bf16
v_cmp_u_f32 s[52:53], v[vgprValuC+77], v[vgprValuC+77] // check Nan
v_bfe_u32 v6, v[vgprValuC+77], 16, 1               // Non-Nan case: store lsb of bf16
v_add3_u32 v6, v[vgprValuC+77], v6, v9             // Non-Nan case: add lsb and the increment for rounding
v_cndmask_b32 v[vgprValuC+77], v6, v8, s[52:53]    // 
v_and_or_b32 v76, v[vgprValuC+77], v7, v[vgprValuC+76] // pack two bf16 to dword
_buffer_store_b32 v76, v10, s[sgprSrdD:sgprSrdD+3], 0, offen, offset:128,  sc0 sc1 // store D

s_waitcnt vmcnt(63)                                // wait C (interleaved) 77 = 78 - 22 + 22 - 1
v_lshlrev_b32 v4, 16, v78                          // convert bf16 to fp32
_v_mac_f32 v[vgprValuC+80], v4, s[sgprBeta]        // finalSum = sum*alpha + C*beta
v_and_b32 v4, v78, v7                              // convert bf16 to fp32
_v_mac_f32 v[vgprValuC+81], v4, s[sgprBeta]        // finalSum = sum*alpha + C*beta
v_cmp_u_f32 s[52:53], v[vgprValuC+80], v[vgprValuC+80] // check Nan
v_bfe_u32 v6, v[vgprValuC+80], 16, 1               // Non-Nan case: store lsb of bf16
v_add3_u32 v6, v[vgprValuC+80], v6, v9             // Non-Nan case: add lsb and the increment for rounding
v_cndmask_b32 v[vgprValuC+80], v6, v8, s[52:53]    // 
v_lshrrev_b32 v[vgprValuC+80], 16, v[vgprValuC+80] // convert C to bf16
v_cmp_u_f32 s[52:53], v[vgprValuC+81], v[vgprValuC+81] // check Nan
v_bfe_u32 v6, v[vgprValuC+81], 16, 1               // Non-Nan case: store lsb of bf16
v_add3_u32 v6, v[vgprValuC+81], v6, v9             // Non-Nan case: add lsb and the increment for rounding
v_cndmask_b32 v[vgprValuC+81], v6, v8, s[52:53]    // 
v_and_or_b32 v80, v[vgprValuC+81], v7, v[vgprValuC+80] // pack two bf16 to dword
	;; [unrolled: 17-line block ×4, first 2 shown]
s_lshl_b32  s52, s[sgprStrideD1J], 1               // incToNextRow: Scale by BPE
s_add_u32  s[sgprSrdD+0], s[sgprSrdD+0], s52       // incToNextRow: gra SRD += inc(lower)
s_addc_u32  s[sgprSrdD+1], s[sgprSrdD+1], 0        // incToNextRow: gra SRD += inc(upper)
_buffer_store_b32 v86, v10, s[sgprSrdD:sgprSrdD+3], 0, offen, offset:0,  sc0 sc1 // store D

s_waitcnt vmcnt(63)                                // wait C (interleaved) 77 = 78 - 25 + 25 - 1
v_lshlrev_b32 v4, 16, v85                          // convert bf16 to fp32
_v_mac_f32 v[vgprValuC+88], v4, s[sgprBeta]        // finalSum = sum*alpha + C*beta
v_and_b32 v4, v85, v7                              // convert bf16 to fp32
_v_mac_f32 v[vgprValuC+89], v4, s[sgprBeta]        // finalSum = sum*alpha + C*beta
v_cmp_u_f32 s[52:53], v[vgprValuC+88], v[vgprValuC+88] // check Nan
v_bfe_u32 v6, v[vgprValuC+88], 16, 1               // Non-Nan case: store lsb of bf16
v_add3_u32 v6, v[vgprValuC+88], v6, v9             // Non-Nan case: add lsb and the increment for rounding
v_cndmask_b32 v[vgprValuC+88], v6, v8, s[52:53]    // 
v_lshrrev_b32 v[vgprValuC+88], 16, v[vgprValuC+88] // convert C to bf16
v_cmp_u_f32 s[52:53], v[vgprValuC+89], v[vgprValuC+89] // check Nan
v_bfe_u32 v6, v[vgprValuC+89], 16, 1               // Non-Nan case: store lsb of bf16
v_add3_u32 v6, v[vgprValuC+89], v6, v9             // Non-Nan case: add lsb and the increment for rounding
v_cndmask_b32 v[vgprValuC+89], v6, v8, s[52:53]    // 
v_and_or_b32 v88, v[vgprValuC+89], v7, v[vgprValuC+88] // pack two bf16 to dword
_buffer_store_b32 v88, v10, s[sgprSrdD:sgprSrdD+3], 0, offen, offset:128,  sc0 sc1 // store D

s_waitcnt vmcnt(63)                                // wait C (interleaved) 77 = 78 - 26 + 26 - 1
v_lshlrev_b32 v4, 16, v90                          // convert bf16 to fp32
_v_mac_f32 v[vgprValuC+92], v4, s[sgprBeta]        // finalSum = sum*alpha + C*beta
v_and_b32 v4, v90, v7                              // convert bf16 to fp32
_v_mac_f32 v[vgprValuC+93], v4, s[sgprBeta]        // finalSum = sum*alpha + C*beta
v_cmp_u_f32 s[52:53], v[vgprValuC+92], v[vgprValuC+92] // check Nan
v_bfe_u32 v6, v[vgprValuC+92], 16, 1               // Non-Nan case: store lsb of bf16
v_add3_u32 v6, v[vgprValuC+92], v6, v9             // Non-Nan case: add lsb and the increment for rounding
v_cndmask_b32 v[vgprValuC+92], v6, v8, s[52:53]    // 
v_lshrrev_b32 v[vgprValuC+92], 16, v[vgprValuC+92] // convert C to bf16
v_cmp_u_f32 s[52:53], v[vgprValuC+93], v[vgprValuC+93] // check Nan
v_bfe_u32 v6, v[vgprValuC+93], 16, 1               // Non-Nan case: store lsb of bf16
v_add3_u32 v6, v[vgprValuC+93], v6, v9             // Non-Nan case: add lsb and the increment for rounding
v_cndmask_b32 v[vgprValuC+93], v6, v8, s[52:53]    // 
v_and_or_b32 v92, v[vgprValuC+93], v7, v[vgprValuC+92] // pack two bf16 to dword
	;; [unrolled: 17-line block ×4, first 2 shown]
s_lshl_b32  s52, s[sgprStrideD1J], 1               // incToNextRow: Scale by BPE
s_add_u32  s[sgprSrdD+0], s[sgprSrdD+0], s52       // incToNextRow: gra SRD += inc(lower)
s_addc_u32  s[sgprSrdD+1], s[sgprSrdD+1], 0        // incToNextRow: gra SRD += inc(upper)
_buffer_store_b32 v98, v10, s[sgprSrdD:sgprSrdD+3], 0, offen, offset:0,  sc0 sc1 // store D

s_waitcnt vmcnt(63)                                // wait C (interleaved) 77 = 78 - 29 + 29 - 1
v_lshlrev_b32 v4, 16, v97                          // convert bf16 to fp32
_v_mac_f32 v[vgprValuC+100], v4, s[sgprBeta]       // finalSum = sum*alpha + C*beta
v_and_b32 v4, v97, v7                              // convert bf16 to fp32
_v_mac_f32 v[vgprValuC+101], v4, s[sgprBeta]       // finalSum = sum*alpha + C*beta
v_cmp_u_f32 s[52:53], v[vgprValuC+100], v[vgprValuC+100] // check Nan
v_bfe_u32 v6, v[vgprValuC+100], 16, 1              // Non-Nan case: store lsb of bf16
v_add3_u32 v6, v[vgprValuC+100], v6, v9            // Non-Nan case: add lsb and the increment for rounding
v_cndmask_b32 v[vgprValuC+100], v6, v8, s[52:53]   // 
v_lshrrev_b32 v[vgprValuC+100], 16, v[vgprValuC+100] // convert C to bf16
v_cmp_u_f32 s[52:53], v[vgprValuC+101], v[vgprValuC+101] // check Nan
v_bfe_u32 v6, v[vgprValuC+101], 16, 1              // Non-Nan case: store lsb of bf16
v_add3_u32 v6, v[vgprValuC+101], v6, v9            // Non-Nan case: add lsb and the increment for rounding
v_cndmask_b32 v[vgprValuC+101], v6, v8, s[52:53]   // 
v_and_or_b32 v100, v[vgprValuC+101], v7, v[vgprValuC+100] // pack two bf16 to dword
_buffer_store_b32 v100, v10, s[sgprSrdD:sgprSrdD+3], 0, offen, offset:128,  sc0 sc1 // store D

s_waitcnt vmcnt(63)                                // wait C (interleaved) 77 = 78 - 30 + 30 - 1
v_lshlrev_b32 v4, 16, v102                         // convert bf16 to fp32
_v_mac_f32 v[vgprValuC+104], v4, s[sgprBeta]       // finalSum = sum*alpha + C*beta
v_and_b32 v4, v102, v7                             // convert bf16 to fp32
_v_mac_f32 v[vgprValuC+105], v4, s[sgprBeta]       // finalSum = sum*alpha + C*beta
v_cmp_u_f32 s[52:53], v[vgprValuC+104], v[vgprValuC+104] // check Nan
v_bfe_u32 v6, v[vgprValuC+104], 16, 1              // Non-Nan case: store lsb of bf16
v_add3_u32 v6, v[vgprValuC+104], v6, v9            // Non-Nan case: add lsb and the increment for rounding
v_cndmask_b32 v[vgprValuC+104], v6, v8, s[52:53]   // 
v_lshrrev_b32 v[vgprValuC+104], 16, v[vgprValuC+104] // convert C to bf16
v_cmp_u_f32 s[52:53], v[vgprValuC+105], v[vgprValuC+105] // check Nan
v_bfe_u32 v6, v[vgprValuC+105], 16, 1              // Non-Nan case: store lsb of bf16
v_add3_u32 v6, v[vgprValuC+105], v6, v9            // Non-Nan case: add lsb and the increment for rounding
v_cndmask_b32 v[vgprValuC+105], v6, v8, s[52:53]   // 
v_and_or_b32 v104, v[vgprValuC+105], v7, v[vgprValuC+104] // pack two bf16 to dword
_buffer_store_b32 v104, v10, s[sgprSrdD:sgprSrdD+3], 0, offen, offset:256,  sc0 sc1 // store D

s_waitcnt vmcnt(63)                                // wait C (interleaved) 77 = 78 - 31 + 31 - 1
v_lshlrev_b32 v4, 16, v103                         // convert bf16 to fp32
_v_mac_f32 v[vgprValuC+106], v4, s[sgprBeta]       // finalSum = sum*alpha + C*beta
v_and_b32 v4, v103, v7                             // convert bf16 to fp32
	;; [unrolled: 17-line block ×3, first 2 shown]
_v_mac_f32 v[vgprValuC+111], v4, s[sgprBeta]       // finalSum = sum*alpha + C*beta
v_cmp_u_f32 s[52:53], v[vgprValuC+110], v[vgprValuC+110] // check Nan
v_bfe_u32 v6, v[vgprValuC+110], 16, 1              // Non-Nan case: store lsb of bf16
v_add3_u32 v6, v[vgprValuC+110], v6, v9            // Non-Nan case: add lsb and the increment for rounding
v_cndmask_b32 v[vgprValuC+110], v6, v8, s[52:53]   // 
v_lshrrev_b32 v[vgprValuC+110], 16, v[vgprValuC+110] // convert C to bf16
v_cmp_u_f32 s[52:53], v[vgprValuC+111], v[vgprValuC+111] // check Nan
v_bfe_u32 v6, v[vgprValuC+111], 16, 1              // Non-Nan case: store lsb of bf16
v_add3_u32 v6, v[vgprValuC+111], v6, v9            // Non-Nan case: add lsb and the increment for rounding
v_cndmask_b32 v[vgprValuC+111], v6, v8, s[52:53]   // 
v_and_or_b32 v110, v[vgprValuC+111], v7, v[vgprValuC+110] // pack two bf16 to dword
s_mul_i32 s52, s[sgprStrideD1J], 58                // scale StrideD *= numRows(29) * bpe
s_add_u32  s[sgprSrdD+0], s[sgprSrdD+0], s52       // incToNextRow: gra SRD += inc(lower)
s_addc_u32  s[sgprSrdD+1], s[sgprSrdD+1], 0        // incToNextRow: gra SRD += inc(upper)
_buffer_store_b32 v110, v10, s[sgprSrdD:sgprSrdD+3], 0, offen, offset:0,  sc0 sc1 // store D

s_waitcnt vmcnt(63)                                // wait C (interleaved) 77 = 78 - 33 + 33 - 1
v_lshlrev_b32 v4, 16, v109                         // convert bf16 to fp32
_v_mac_f32 v[vgprValuC+112], v4, s[sgprBeta]       // finalSum = sum*alpha + C*beta
v_and_b32 v4, v109, v7                             // convert bf16 to fp32
_v_mac_f32 v[vgprValuC+113], v4, s[sgprBeta]       // finalSum = sum*alpha + C*beta
v_cmp_u_f32 s[52:53], v[vgprValuC+112], v[vgprValuC+112] // check Nan
v_bfe_u32 v6, v[vgprValuC+112], 16, 1              // Non-Nan case: store lsb of bf16
v_add3_u32 v6, v[vgprValuC+112], v6, v9            // Non-Nan case: add lsb and the increment for rounding
v_cndmask_b32 v[vgprValuC+112], v6, v8, s[52:53]   // 
v_lshrrev_b32 v[vgprValuC+112], 16, v[vgprValuC+112] // convert C to bf16
v_cmp_u_f32 s[52:53], v[vgprValuC+113], v[vgprValuC+113] // check Nan
v_bfe_u32 v6, v[vgprValuC+113], 16, 1              // Non-Nan case: store lsb of bf16
v_add3_u32 v6, v[vgprValuC+113], v6, v9            // Non-Nan case: add lsb and the increment for rounding
v_cndmask_b32 v[vgprValuC+113], v6, v8, s[52:53]   // 
v_and_or_b32 v112, v[vgprValuC+113], v7, v[vgprValuC+112] // pack two bf16 to dword
_buffer_store_b32 v112, v10, s[sgprSrdD:sgprSrdD+3], 0, offen, offset:128,  sc0 sc1 // store D

s_waitcnt vmcnt(63)                                // wait C (interleaved) 77 = 78 - 34 + 34 - 1
v_lshlrev_b32 v4, 16, v114                         // convert bf16 to fp32
_v_mac_f32 v[vgprValuC+116], v4, s[sgprBeta]       // finalSum = sum*alpha + C*beta
v_and_b32 v4, v114, v7                             // convert bf16 to fp32
_v_mac_f32 v[vgprValuC+117], v4, s[sgprBeta]       // finalSum = sum*alpha + C*beta
v_cmp_u_f32 s[52:53], v[vgprValuC+116], v[vgprValuC+116] // check Nan
v_bfe_u32 v6, v[vgprValuC+116], 16, 1              // Non-Nan case: store lsb of bf16
v_add3_u32 v6, v[vgprValuC+116], v6, v9            // Non-Nan case: add lsb and the increment for rounding
v_cndmask_b32 v[vgprValuC+116], v6, v8, s[52:53]   // 
v_lshrrev_b32 v[vgprValuC+116], 16, v[vgprValuC+116] // convert C to bf16
v_cmp_u_f32 s[52:53], v[vgprValuC+117], v[vgprValuC+117] // check Nan
v_bfe_u32 v6, v[vgprValuC+117], 16, 1              // Non-Nan case: store lsb of bf16
v_add3_u32 v6, v[vgprValuC+117], v6, v9            // Non-Nan case: add lsb and the increment for rounding
v_cndmask_b32 v[vgprValuC+117], v6, v8, s[52:53]   // 
v_and_or_b32 v116, v[vgprValuC+117], v7, v[vgprValuC+116] // pack two bf16 to dword
	;; [unrolled: 17-line block ×4, first 2 shown]
s_lshl_b32  s52, s[sgprStrideD1J], 1               // incToNextRow: Scale by BPE
s_add_u32  s[sgprSrdD+0], s[sgprSrdD+0], s52       // incToNextRow: gra SRD += inc(lower)
s_addc_u32  s[sgprSrdD+1], s[sgprSrdD+1], 0        // incToNextRow: gra SRD += inc(upper)
_buffer_store_b32 v122, v10, s[sgprSrdD:sgprSrdD+3], 0, offen, offset:0,  sc0 sc1 // store D

s_waitcnt vmcnt(63)                                // wait C (interleaved) 77 = 78 - 37 + 37 - 1
v_lshlrev_b32 v4, 16, v121                         // convert bf16 to fp32
_v_mac_f32 v[vgprValuC+124], v4, s[sgprBeta]       // finalSum = sum*alpha + C*beta
v_and_b32 v4, v121, v7                             // convert bf16 to fp32
_v_mac_f32 v[vgprValuC+125], v4, s[sgprBeta]       // finalSum = sum*alpha + C*beta
v_cmp_u_f32 s[52:53], v[vgprValuC+124], v[vgprValuC+124] // check Nan
v_bfe_u32 v6, v[vgprValuC+124], 16, 1              // Non-Nan case: store lsb of bf16
v_add3_u32 v6, v[vgprValuC+124], v6, v9            // Non-Nan case: add lsb and the increment for rounding
v_cndmask_b32 v[vgprValuC+124], v6, v8, s[52:53]   // 
v_lshrrev_b32 v[vgprValuC+124], 16, v[vgprValuC+124] // convert C to bf16
v_cmp_u_f32 s[52:53], v[vgprValuC+125], v[vgprValuC+125] // check Nan
v_bfe_u32 v6, v[vgprValuC+125], 16, 1              // Non-Nan case: store lsb of bf16
v_add3_u32 v6, v[vgprValuC+125], v6, v9            // Non-Nan case: add lsb and the increment for rounding
v_cndmask_b32 v[vgprValuC+125], v6, v8, s[52:53]   // 
v_and_or_b32 v124, v[vgprValuC+125], v7, v[vgprValuC+124] // pack two bf16 to dword
_buffer_store_b32 v124, v10, s[sgprSrdD:sgprSrdD+3], 0, offen, offset:128,  sc0 sc1 // store D

s_waitcnt vmcnt(63)                                // wait C (interleaved) 77 = 78 - 38 + 38 - 1
v_lshlrev_b32 v4, 16, v126                         // convert bf16 to fp32
_v_mac_f32 v[vgprValuC+128], v4, s[sgprBeta]       // finalSum = sum*alpha + C*beta
v_and_b32 v4, v126, v7                             // convert bf16 to fp32
_v_mac_f32 v[vgprValuC+129], v4, s[sgprBeta]       // finalSum = sum*alpha + C*beta
v_cmp_u_f32 s[52:53], v[vgprValuC+128], v[vgprValuC+128] // check Nan
v_bfe_u32 v6, v[vgprValuC+128], 16, 1              // Non-Nan case: store lsb of bf16
v_add3_u32 v6, v[vgprValuC+128], v6, v9            // Non-Nan case: add lsb and the increment for rounding
v_cndmask_b32 v[vgprValuC+128], v6, v8, s[52:53]   // 
v_lshrrev_b32 v[vgprValuC+128], 16, v[vgprValuC+128] // convert C to bf16
v_cmp_u_f32 s[52:53], v[vgprValuC+129], v[vgprValuC+129] // check Nan
v_bfe_u32 v6, v[vgprValuC+129], 16, 1              // Non-Nan case: store lsb of bf16
v_add3_u32 v6, v[vgprValuC+129], v6, v9            // Non-Nan case: add lsb and the increment for rounding
v_cndmask_b32 v[vgprValuC+129], v6, v8, s[52:53]   // 
v_and_or_b32 v128, v[vgprValuC+129], v7, v[vgprValuC+128] // pack two bf16 to dword
	;; [unrolled: 17-line block ×4, first 2 shown]
s_lshl_b32  s52, s[sgprStrideD1J], 1               // incToNextRow: Scale by BPE
s_add_u32  s[sgprSrdD+0], s[sgprSrdD+0], s52       // incToNextRow: gra SRD += inc(lower)
s_addc_u32  s[sgprSrdD+1], s[sgprSrdD+1], 0        // incToNextRow: gra SRD += inc(upper)
_buffer_store_b32 v134, v10, s[sgprSrdD:sgprSrdD+3], 0, offen, offset:0,  sc0 sc1 // store D

s_waitcnt vmcnt(63)                                // wait C (interleaved) 77 = 78 - 41 + 41 - 1
v_lshlrev_b32 v4, 16, v133                         // convert bf16 to fp32
_v_mac_f32 v[vgprValuC+136], v4, s[sgprBeta]       // finalSum = sum*alpha + C*beta
v_and_b32 v4, v133, v7                             // convert bf16 to fp32
_v_mac_f32 v[vgprValuC+137], v4, s[sgprBeta]       // finalSum = sum*alpha + C*beta
v_cmp_u_f32 s[52:53], v[vgprValuC+136], v[vgprValuC+136] // check Nan
v_bfe_u32 v6, v[vgprValuC+136], 16, 1              // Non-Nan case: store lsb of bf16
v_add3_u32 v6, v[vgprValuC+136], v6, v9            // Non-Nan case: add lsb and the increment for rounding
v_cndmask_b32 v[vgprValuC+136], v6, v8, s[52:53]   // 
v_lshrrev_b32 v[vgprValuC+136], 16, v[vgprValuC+136] // convert C to bf16
v_cmp_u_f32 s[52:53], v[vgprValuC+137], v[vgprValuC+137] // check Nan
v_bfe_u32 v6, v[vgprValuC+137], 16, 1              // Non-Nan case: store lsb of bf16
v_add3_u32 v6, v[vgprValuC+137], v6, v9            // Non-Nan case: add lsb and the increment for rounding
v_cndmask_b32 v[vgprValuC+137], v6, v8, s[52:53]   // 
v_and_or_b32 v136, v[vgprValuC+137], v7, v[vgprValuC+136] // pack two bf16 to dword
_buffer_store_b32 v136, v10, s[sgprSrdD:sgprSrdD+3], 0, offen, offset:128,  sc0 sc1 // store D

s_waitcnt vmcnt(63)                                // wait C (interleaved) 77 = 78 - 42 + 42 - 1
v_lshlrev_b32 v4, 16, v138                         // convert bf16 to fp32
_v_mac_f32 v[vgprValuC+140], v4, s[sgprBeta]       // finalSum = sum*alpha + C*beta
v_and_b32 v4, v138, v7                             // convert bf16 to fp32
_v_mac_f32 v[vgprValuC+141], v4, s[sgprBeta]       // finalSum = sum*alpha + C*beta
v_cmp_u_f32 s[52:53], v[vgprValuC+140], v[vgprValuC+140] // check Nan
v_bfe_u32 v6, v[vgprValuC+140], 16, 1              // Non-Nan case: store lsb of bf16
v_add3_u32 v6, v[vgprValuC+140], v6, v9            // Non-Nan case: add lsb and the increment for rounding
v_cndmask_b32 v[vgprValuC+140], v6, v8, s[52:53]   // 
v_lshrrev_b32 v[vgprValuC+140], 16, v[vgprValuC+140] // convert C to bf16
v_cmp_u_f32 s[52:53], v[vgprValuC+141], v[vgprValuC+141] // check Nan
v_bfe_u32 v6, v[vgprValuC+141], 16, 1              // Non-Nan case: store lsb of bf16
v_add3_u32 v6, v[vgprValuC+141], v6, v9            // Non-Nan case: add lsb and the increment for rounding
v_cndmask_b32 v[vgprValuC+141], v6, v8, s[52:53]   // 
v_and_or_b32 v140, v[vgprValuC+141], v7, v[vgprValuC+140] // pack two bf16 to dword
	;; [unrolled: 17-line block ×4, first 2 shown]
s_lshl_b32  s52, s[sgprStrideD1J], 1               // incToNextRow: Scale by BPE
s_add_u32  s[sgprSrdD+0], s[sgprSrdD+0], s52       // incToNextRow: gra SRD += inc(lower)
s_addc_u32  s[sgprSrdD+1], s[sgprSrdD+1], 0        // incToNextRow: gra SRD += inc(upper)
_buffer_store_b32 v146, v10, s[sgprSrdD:sgprSrdD+3], 0, offen, offset:0,  sc0 sc1 // store D

s_waitcnt vmcnt(63)                                // wait C (interleaved) 77 = 78 - 45 + 45 - 1
v_lshlrev_b32 v4, 16, v145                         // convert bf16 to fp32
_v_mac_f32 v[vgprValuC+152], v4, s[sgprBeta]       // finalSum = sum*alpha + C*beta
v_and_b32 v4, v145, v7                             // convert bf16 to fp32
_v_mac_f32 v[vgprValuC+153], v4, s[sgprBeta]       // finalSum = sum*alpha + C*beta
v_cmp_u_f32 s[52:53], v[vgprValuC+152], v[vgprValuC+152] // check Nan
v_bfe_u32 v6, v[vgprValuC+152], 16, 1              // Non-Nan case: store lsb of bf16
v_add3_u32 v6, v[vgprValuC+152], v6, v9            // Non-Nan case: add lsb and the increment for rounding
v_cndmask_b32 v[vgprValuC+152], v6, v8, s[52:53]   // 
v_lshrrev_b32 v[vgprValuC+152], 16, v[vgprValuC+152] // convert C to bf16
v_cmp_u_f32 s[52:53], v[vgprValuC+153], v[vgprValuC+153] // check Nan
v_bfe_u32 v6, v[vgprValuC+153], 16, 1              // Non-Nan case: store lsb of bf16
v_add3_u32 v6, v[vgprValuC+153], v6, v9            // Non-Nan case: add lsb and the increment for rounding
v_cndmask_b32 v[vgprValuC+153], v6, v8, s[52:53]   // 
v_and_or_b32 v152, v[vgprValuC+153], v7, v[vgprValuC+152] // pack two bf16 to dword
_buffer_store_b32 v152, v10, s[sgprSrdD:sgprSrdD+3], 0, offen, offset:128,  sc0 sc1 // store D

s_waitcnt vmcnt(63)                                // wait C (interleaved) 77 = 78 - 46 + 46 - 1
v_lshlrev_b32 v4, 16, v151                         // convert bf16 to fp32
_v_mac_f32 v[vgprValuC+154], v4, s[sgprBeta]       // finalSum = sum*alpha + C*beta
v_and_b32 v4, v151, v7                             // convert bf16 to fp32
_v_mac_f32 v[vgprValuC+155], v4, s[sgprBeta]       // finalSum = sum*alpha + C*beta
v_cmp_u_f32 s[52:53], v[vgprValuC+154], v[vgprValuC+154] // check Nan
v_bfe_u32 v6, v[vgprValuC+154], 16, 1              // Non-Nan case: store lsb of bf16
v_add3_u32 v6, v[vgprValuC+154], v6, v9            // Non-Nan case: add lsb and the increment for rounding
v_cndmask_b32 v[vgprValuC+154], v6, v8, s[52:53]   // 
v_lshrrev_b32 v[vgprValuC+154], 16, v[vgprValuC+154] // convert C to bf16
v_cmp_u_f32 s[52:53], v[vgprValuC+155], v[vgprValuC+155] // check Nan
v_bfe_u32 v6, v[vgprValuC+155], 16, 1              // Non-Nan case: store lsb of bf16
v_add3_u32 v6, v[vgprValuC+155], v6, v9            // Non-Nan case: add lsb and the increment for rounding
v_cndmask_b32 v[vgprValuC+155], v6, v8, s[52:53]   // 
v_and_or_b32 v154, v[vgprValuC+155], v7, v[vgprValuC+154] // pack two bf16 to dword
	;; [unrolled: 17-line block ×4, first 2 shown]
s_mul_i32 s52, s[sgprStrideD1J], 58                // scale StrideD *= numRows(29) * bpe
s_add_u32  s[sgprSrdD+0], s[sgprSrdD+0], s52       // incToNextRow: gra SRD += inc(lower)
s_addc_u32  s[sgprSrdD+1], s[sgprSrdD+1], 0        // incToNextRow: gra SRD += inc(upper)
_buffer_store_b32 v160, v10, s[sgprSrdD:sgprSrdD+3], 0, offen, offset:0,  sc0 sc1 // store D

s_waitcnt vmcnt(63)                                // wait C (interleaved) 77 = 78 - 49 + 49 - 1
v_lshlrev_b32 v4, 16, v162                         // convert bf16 to fp32
_v_mac_f32 v[vgprValuC+164], v4, s[sgprBeta]       // finalSum = sum*alpha + C*beta
v_and_b32 v4, v162, v7                             // convert bf16 to fp32
_v_mac_f32 v[vgprValuC+165], v4, s[sgprBeta]       // finalSum = sum*alpha + C*beta
v_cmp_u_f32 s[52:53], v[vgprValuC+164], v[vgprValuC+164] // check Nan
v_bfe_u32 v6, v[vgprValuC+164], 16, 1              // Non-Nan case: store lsb of bf16
v_add3_u32 v6, v[vgprValuC+164], v6, v9            // Non-Nan case: add lsb and the increment for rounding
v_cndmask_b32 v[vgprValuC+164], v6, v8, s[52:53]   // 
v_lshrrev_b32 v[vgprValuC+164], 16, v[vgprValuC+164] // convert C to bf16
v_cmp_u_f32 s[52:53], v[vgprValuC+165], v[vgprValuC+165] // check Nan
v_bfe_u32 v6, v[vgprValuC+165], 16, 1              // Non-Nan case: store lsb of bf16
v_add3_u32 v6, v[vgprValuC+165], v6, v9            // Non-Nan case: add lsb and the increment for rounding
v_cndmask_b32 v[vgprValuC+165], v6, v8, s[52:53]   // 
v_and_or_b32 v164, v[vgprValuC+165], v7, v[vgprValuC+164] // pack two bf16 to dword
_buffer_store_b32 v164, v10, s[sgprSrdD:sgprSrdD+3], 0, offen, offset:128,  sc0 sc1 // store D

s_waitcnt vmcnt(63)                                // wait C (interleaved) 77 = 78 - 50 + 50 - 1
v_lshlrev_b32 v4, 16, v163                         // convert bf16 to fp32
_v_mac_f32 v[vgprValuC+166], v4, s[sgprBeta]       // finalSum = sum*alpha + C*beta
v_and_b32 v4, v163, v7                             // convert bf16 to fp32
_v_mac_f32 v[vgprValuC+167], v4, s[sgprBeta]       // finalSum = sum*alpha + C*beta
v_cmp_u_f32 s[52:53], v[vgprValuC+166], v[vgprValuC+166] // check Nan
v_bfe_u32 v6, v[vgprValuC+166], 16, 1              // Non-Nan case: store lsb of bf16
v_add3_u32 v6, v[vgprValuC+166], v6, v9            // Non-Nan case: add lsb and the increment for rounding
v_cndmask_b32 v[vgprValuC+166], v6, v8, s[52:53]   // 
v_lshrrev_b32 v[vgprValuC+166], 16, v[vgprValuC+166] // convert C to bf16
v_cmp_u_f32 s[52:53], v[vgprValuC+167], v[vgprValuC+167] // check Nan
v_bfe_u32 v6, v[vgprValuC+167], 16, 1              // Non-Nan case: store lsb of bf16
v_add3_u32 v6, v[vgprValuC+167], v6, v9            // Non-Nan case: add lsb and the increment for rounding
v_cndmask_b32 v[vgprValuC+167], v6, v8, s[52:53]   // 
v_and_or_b32 v166, v[vgprValuC+167], v7, v[vgprValuC+166] // pack two bf16 to dword
	;; [unrolled: 17-line block ×4, first 2 shown]
s_lshl_b32  s52, s[sgprStrideD1J], 1               // incToNextRow: Scale by BPE
s_add_u32  s[sgprSrdD+0], s[sgprSrdD+0], s52       // incToNextRow: gra SRD += inc(lower)
s_addc_u32  s[sgprSrdD+1], s[sgprSrdD+1], 0        // incToNextRow: gra SRD += inc(upper)
_buffer_store_b32 v172, v10, s[sgprSrdD:sgprSrdD+3], 0, offen, offset:0,  sc0 sc1 // store D

s_waitcnt vmcnt(63)                                // wait C (interleaved) 77 = 78 - 53 + 53 - 1
v_lshlrev_b32 v4, 16, v174                         // convert bf16 to fp32
_v_mac_f32 v[vgprValuC+176], v4, s[sgprBeta]       // finalSum = sum*alpha + C*beta
v_and_b32 v4, v174, v7                             // convert bf16 to fp32
_v_mac_f32 v[vgprValuC+177], v4, s[sgprBeta]       // finalSum = sum*alpha + C*beta
v_cmp_u_f32 s[52:53], v[vgprValuC+176], v[vgprValuC+176] // check Nan
v_bfe_u32 v6, v[vgprValuC+176], 16, 1              // Non-Nan case: store lsb of bf16
v_add3_u32 v6, v[vgprValuC+176], v6, v9            // Non-Nan case: add lsb and the increment for rounding
v_cndmask_b32 v[vgprValuC+176], v6, v8, s[52:53]   // 
v_lshrrev_b32 v[vgprValuC+176], 16, v[vgprValuC+176] // convert C to bf16
v_cmp_u_f32 s[52:53], v[vgprValuC+177], v[vgprValuC+177] // check Nan
v_bfe_u32 v6, v[vgprValuC+177], 16, 1              // Non-Nan case: store lsb of bf16
v_add3_u32 v6, v[vgprValuC+177], v6, v9            // Non-Nan case: add lsb and the increment for rounding
v_cndmask_b32 v[vgprValuC+177], v6, v8, s[52:53]   // 
v_and_or_b32 v176, v[vgprValuC+177], v7, v[vgprValuC+176] // pack two bf16 to dword
_buffer_store_b32 v176, v10, s[sgprSrdD:sgprSrdD+3], 0, offen, offset:128,  sc0 sc1 // store D

s_waitcnt vmcnt(63)                                // wait C (interleaved) 77 = 78 - 54 + 54 - 1
v_lshlrev_b32 v4, 16, v175                         // convert bf16 to fp32
_v_mac_f32 v[vgprValuC+178], v4, s[sgprBeta]       // finalSum = sum*alpha + C*beta
v_and_b32 v4, v175, v7                             // convert bf16 to fp32
_v_mac_f32 v[vgprValuC+179], v4, s[sgprBeta]       // finalSum = sum*alpha + C*beta
v_cmp_u_f32 s[52:53], v[vgprValuC+178], v[vgprValuC+178] // check Nan
v_bfe_u32 v6, v[vgprValuC+178], 16, 1              // Non-Nan case: store lsb of bf16
v_add3_u32 v6, v[vgprValuC+178], v6, v9            // Non-Nan case: add lsb and the increment for rounding
v_cndmask_b32 v[vgprValuC+178], v6, v8, s[52:53]   // 
v_lshrrev_b32 v[vgprValuC+178], 16, v[vgprValuC+178] // convert C to bf16
v_cmp_u_f32 s[52:53], v[vgprValuC+179], v[vgprValuC+179] // check Nan
v_bfe_u32 v6, v[vgprValuC+179], 16, 1              // Non-Nan case: store lsb of bf16
v_add3_u32 v6, v[vgprValuC+179], v6, v9            // Non-Nan case: add lsb and the increment for rounding
v_cndmask_b32 v[vgprValuC+179], v6, v8, s[52:53]   // 
v_and_or_b32 v178, v[vgprValuC+179], v7, v[vgprValuC+178] // pack two bf16 to dword
	;; [unrolled: 17-line block ×4, first 2 shown]
s_lshl_b32  s52, s[sgprStrideD1J], 1               // incToNextRow: Scale by BPE
s_add_u32  s[sgprSrdD+0], s[sgprSrdD+0], s52       // incToNextRow: gra SRD += inc(lower)
s_addc_u32  s[sgprSrdD+1], s[sgprSrdD+1], 0        // incToNextRow: gra SRD += inc(upper)
_buffer_store_b32 v184, v10, s[sgprSrdD:sgprSrdD+3], 0, offen, offset:0,  sc0 sc1 // store D

s_waitcnt vmcnt(63)                                // wait C (interleaved) 77 = 78 - 57 + 57 - 1
v_lshlrev_b32 v4, 16, v186                         // convert bf16 to fp32
_v_mac_f32 v[vgprValuC+188], v4, s[sgprBeta]       // finalSum = sum*alpha + C*beta
v_and_b32 v4, v186, v7                             // convert bf16 to fp32
_v_mac_f32 v[vgprValuC+189], v4, s[sgprBeta]       // finalSum = sum*alpha + C*beta
v_cmp_u_f32 s[52:53], v[vgprValuC+188], v[vgprValuC+188] // check Nan
v_bfe_u32 v6, v[vgprValuC+188], 16, 1              // Non-Nan case: store lsb of bf16
v_add3_u32 v6, v[vgprValuC+188], v6, v9            // Non-Nan case: add lsb and the increment for rounding
v_cndmask_b32 v[vgprValuC+188], v6, v8, s[52:53]   // 
v_lshrrev_b32 v[vgprValuC+188], 16, v[vgprValuC+188] // convert C to bf16
v_cmp_u_f32 s[52:53], v[vgprValuC+189], v[vgprValuC+189] // check Nan
v_bfe_u32 v6, v[vgprValuC+189], 16, 1              // Non-Nan case: store lsb of bf16
v_add3_u32 v6, v[vgprValuC+189], v6, v9            // Non-Nan case: add lsb and the increment for rounding
v_cndmask_b32 v[vgprValuC+189], v6, v8, s[52:53]   // 
v_and_or_b32 v188, v[vgprValuC+189], v7, v[vgprValuC+188] // pack two bf16 to dword
_buffer_store_b32 v188, v10, s[sgprSrdD:sgprSrdD+3], 0, offen, offset:128,  sc0 sc1 // store D

s_waitcnt vmcnt(63)                                // wait C (interleaved) 77 = 78 - 58 + 58 - 1
v_lshlrev_b32 v4, 16, v187                         // convert bf16 to fp32
_v_mac_f32 v[vgprValuC+190], v4, s[sgprBeta]       // finalSum = sum*alpha + C*beta
v_and_b32 v4, v187, v7                             // convert bf16 to fp32
_v_mac_f32 v[vgprValuC+191], v4, s[sgprBeta]       // finalSum = sum*alpha + C*beta
v_cmp_u_f32 s[52:53], v[vgprValuC+190], v[vgprValuC+190] // check Nan
v_bfe_u32 v6, v[vgprValuC+190], 16, 1              // Non-Nan case: store lsb of bf16
v_add3_u32 v6, v[vgprValuC+190], v6, v9            // Non-Nan case: add lsb and the increment for rounding
v_cndmask_b32 v[vgprValuC+190], v6, v8, s[52:53]   // 
v_lshrrev_b32 v[vgprValuC+190], 16, v[vgprValuC+190] // convert C to bf16
v_cmp_u_f32 s[52:53], v[vgprValuC+191], v[vgprValuC+191] // check Nan
v_bfe_u32 v6, v[vgprValuC+191], 16, 1              // Non-Nan case: store lsb of bf16
v_add3_u32 v6, v[vgprValuC+191], v6, v9            // Non-Nan case: add lsb and the increment for rounding
v_cndmask_b32 v[vgprValuC+191], v6, v8, s[52:53]   // 
v_and_or_b32 v190, v[vgprValuC+191], v7, v[vgprValuC+190] // pack two bf16 to dword
	;; [unrolled: 17-line block ×4, first 2 shown]
s_lshl_b32  s52, s[sgprStrideD1J], 1               // incToNextRow: Scale by BPE
s_add_u32  s[sgprSrdD+0], s[sgprSrdD+0], s52       // incToNextRow: gra SRD += inc(lower)
s_addc_u32  s[sgprSrdD+1], s[sgprSrdD+1], 0        // incToNextRow: gra SRD += inc(upper)
_buffer_store_b32 v196, v10, s[sgprSrdD:sgprSrdD+3], 0, offen, offset:0,  sc0 sc1 // store D

s_waitcnt vmcnt(63)                                // wait C (interleaved) 77 = 78 - 61 + 61 - 1
v_lshlrev_b32 v4, 16, v198                         // convert bf16 to fp32
_v_mac_f32 v[vgprValuC+200], v4, s[sgprBeta]       // finalSum = sum*alpha + C*beta
v_and_b32 v4, v198, v7                             // convert bf16 to fp32
_v_mac_f32 v[vgprValuC+201], v4, s[sgprBeta]       // finalSum = sum*alpha + C*beta
v_cmp_u_f32 s[52:53], v[vgprValuC+200], v[vgprValuC+200] // check Nan
v_bfe_u32 v6, v[vgprValuC+200], 16, 1              // Non-Nan case: store lsb of bf16
v_add3_u32 v6, v[vgprValuC+200], v6, v9            // Non-Nan case: add lsb and the increment for rounding
v_cndmask_b32 v[vgprValuC+200], v6, v8, s[52:53]   // 
v_lshrrev_b32 v[vgprValuC+200], 16, v[vgprValuC+200] // convert C to bf16
v_cmp_u_f32 s[52:53], v[vgprValuC+201], v[vgprValuC+201] // check Nan
v_bfe_u32 v6, v[vgprValuC+201], 16, 1              // Non-Nan case: store lsb of bf16
v_add3_u32 v6, v[vgprValuC+201], v6, v9            // Non-Nan case: add lsb and the increment for rounding
v_cndmask_b32 v[vgprValuC+201], v6, v8, s[52:53]   // 
v_and_or_b32 v200, v[vgprValuC+201], v7, v[vgprValuC+200] // pack two bf16 to dword
_buffer_store_b32 v200, v10, s[sgprSrdD:sgprSrdD+3], 0, offen, offset:128,  sc0 sc1 // store D

s_waitcnt vmcnt(63)                                // wait C (interleaved) 77 = 78 - 62 + 62 - 1
v_lshlrev_b32 v4, 16, v199                         // convert bf16 to fp32
_v_mac_f32 v[vgprValuC+202], v4, s[sgprBeta]       // finalSum = sum*alpha + C*beta
v_and_b32 v4, v199, v7                             // convert bf16 to fp32
_v_mac_f32 v[vgprValuC+203], v4, s[sgprBeta]       // finalSum = sum*alpha + C*beta
v_cmp_u_f32 s[52:53], v[vgprValuC+202], v[vgprValuC+202] // check Nan
v_bfe_u32 v6, v[vgprValuC+202], 16, 1              // Non-Nan case: store lsb of bf16
v_add3_u32 v6, v[vgprValuC+202], v6, v9            // Non-Nan case: add lsb and the increment for rounding
v_cndmask_b32 v[vgprValuC+202], v6, v8, s[52:53]   // 
v_lshrrev_b32 v[vgprValuC+202], 16, v[vgprValuC+202] // convert C to bf16
v_cmp_u_f32 s[52:53], v[vgprValuC+203], v[vgprValuC+203] // check Nan
v_bfe_u32 v6, v[vgprValuC+203], 16, 1              // Non-Nan case: store lsb of bf16
v_add3_u32 v6, v[vgprValuC+203], v6, v9            // Non-Nan case: add lsb and the increment for rounding
v_cndmask_b32 v[vgprValuC+203], v6, v8, s[52:53]   // 
v_and_or_b32 v202, v[vgprValuC+203], v7, v[vgprValuC+202] // pack two bf16 to dword
	;; [unrolled: 17-line block ×4, first 2 shown]
s_mul_i32 s52, s[sgprStrideD1J], 58                // scale StrideD *= numRows(29) * bpe
s_add_u32  s[sgprSrdD+0], s[sgprSrdD+0], s52       // incToNextRow: gra SRD += inc(lower)
s_addc_u32  s[sgprSrdD+1], s[sgprSrdD+1], 0        // incToNextRow: gra SRD += inc(upper)
_buffer_store_b32 v208, v10, s[sgprSrdD:sgprSrdD+3], 0, offen, offset:0,  sc0 sc1 // store D

s_waitcnt vmcnt(63)                                // wait C (interleaved) 77 = 78 - 65 + 65 - 1
v_lshlrev_b32 v4, 16, v210                         // convert bf16 to fp32
_v_mac_f32 v[vgprValuC+212], v4, s[sgprBeta]       // finalSum = sum*alpha + C*beta
v_and_b32 v4, v210, v7                             // convert bf16 to fp32
_v_mac_f32 v[vgprValuC+213], v4, s[sgprBeta]       // finalSum = sum*alpha + C*beta
v_cmp_u_f32 s[52:53], v[vgprValuC+212], v[vgprValuC+212] // check Nan
v_bfe_u32 v6, v[vgprValuC+212], 16, 1              // Non-Nan case: store lsb of bf16
v_add3_u32 v6, v[vgprValuC+212], v6, v9            // Non-Nan case: add lsb and the increment for rounding
v_cndmask_b32 v[vgprValuC+212], v6, v8, s[52:53]   // 
v_lshrrev_b32 v[vgprValuC+212], 16, v[vgprValuC+212] // convert C to bf16
v_cmp_u_f32 s[52:53], v[vgprValuC+213], v[vgprValuC+213] // check Nan
v_bfe_u32 v6, v[vgprValuC+213], 16, 1              // Non-Nan case: store lsb of bf16
v_add3_u32 v6, v[vgprValuC+213], v6, v9            // Non-Nan case: add lsb and the increment for rounding
v_cndmask_b32 v[vgprValuC+213], v6, v8, s[52:53]   // 
v_and_or_b32 v212, v[vgprValuC+213], v7, v[vgprValuC+212] // pack two bf16 to dword
_buffer_store_b32 v212, v10, s[sgprSrdD:sgprSrdD+3], 0, offen, offset:128,  sc0 sc1 // store D

s_waitcnt vmcnt(63)                                // wait C (interleaved) 77 = 78 - 66 + 66 - 1
v_lshlrev_b32 v4, 16, v211                         // convert bf16 to fp32
_v_mac_f32 v[vgprValuC+214], v4, s[sgprBeta]       // finalSum = sum*alpha + C*beta
v_and_b32 v4, v211, v7                             // convert bf16 to fp32
_v_mac_f32 v[vgprValuC+215], v4, s[sgprBeta]       // finalSum = sum*alpha + C*beta
v_cmp_u_f32 s[52:53], v[vgprValuC+214], v[vgprValuC+214] // check Nan
v_bfe_u32 v6, v[vgprValuC+214], 16, 1              // Non-Nan case: store lsb of bf16
v_add3_u32 v6, v[vgprValuC+214], v6, v9            // Non-Nan case: add lsb and the increment for rounding
v_cndmask_b32 v[vgprValuC+214], v6, v8, s[52:53]   // 
v_lshrrev_b32 v[vgprValuC+214], 16, v[vgprValuC+214] // convert C to bf16
v_cmp_u_f32 s[52:53], v[vgprValuC+215], v[vgprValuC+215] // check Nan
v_bfe_u32 v6, v[vgprValuC+215], 16, 1              // Non-Nan case: store lsb of bf16
v_add3_u32 v6, v[vgprValuC+215], v6, v9            // Non-Nan case: add lsb and the increment for rounding
v_cndmask_b32 v[vgprValuC+215], v6, v8, s[52:53]   // 
v_and_or_b32 v214, v[vgprValuC+215], v7, v[vgprValuC+214] // pack two bf16 to dword
	;; [unrolled: 17-line block ×4, first 2 shown]
s_lshl_b32  s52, s[sgprStrideD1J], 1               // incToNextRow: Scale by BPE
s_add_u32  s[sgprSrdD+0], s[sgprSrdD+0], s52       // incToNextRow: gra SRD += inc(lower)
s_addc_u32  s[sgprSrdD+1], s[sgprSrdD+1], 0        // incToNextRow: gra SRD += inc(upper)
_buffer_store_b32 v220, v10, s[sgprSrdD:sgprSrdD+3], 0, offen, offset:0,  sc0 sc1 // store D

s_waitcnt vmcnt(63)                                // wait C (interleaved) 77 = 78 - 69 + 69 - 1
v_lshlrev_b32 v4, 16, v222                         // convert bf16 to fp32
_v_mac_f32 v[vgprValuC+224], v4, s[sgprBeta]       // finalSum = sum*alpha + C*beta
v_and_b32 v4, v222, v7                             // convert bf16 to fp32
_v_mac_f32 v[vgprValuC+225], v4, s[sgprBeta]       // finalSum = sum*alpha + C*beta
v_cmp_u_f32 s[52:53], v[vgprValuC+224], v[vgprValuC+224] // check Nan
v_bfe_u32 v6, v[vgprValuC+224], 16, 1              // Non-Nan case: store lsb of bf16
v_add3_u32 v6, v[vgprValuC+224], v6, v9            // Non-Nan case: add lsb and the increment for rounding
v_cndmask_b32 v[vgprValuC+224], v6, v8, s[52:53]   // 
v_lshrrev_b32 v[vgprValuC+224], 16, v[vgprValuC+224] // convert C to bf16
v_cmp_u_f32 s[52:53], v[vgprValuC+225], v[vgprValuC+225] // check Nan
v_bfe_u32 v6, v[vgprValuC+225], 16, 1              // Non-Nan case: store lsb of bf16
v_add3_u32 v6, v[vgprValuC+225], v6, v9            // Non-Nan case: add lsb and the increment for rounding
v_cndmask_b32 v[vgprValuC+225], v6, v8, s[52:53]   // 
v_and_or_b32 v224, v[vgprValuC+225], v7, v[vgprValuC+224] // pack two bf16 to dword
_buffer_store_b32 v224, v10, s[sgprSrdD:sgprSrdD+3], 0, offen, offset:128,  sc0 sc1 // store D

s_waitcnt vmcnt(63)                                // wait C (interleaved) 77 = 78 - 70 + 70 - 1
v_lshlrev_b32 v4, 16, v223                         // convert bf16 to fp32
_v_mac_f32 v[vgprValuC+226], v4, s[sgprBeta]       // finalSum = sum*alpha + C*beta
v_and_b32 v4, v223, v7                             // convert bf16 to fp32
_v_mac_f32 v[vgprValuC+227], v4, s[sgprBeta]       // finalSum = sum*alpha + C*beta
v_cmp_u_f32 s[52:53], v[vgprValuC+226], v[vgprValuC+226] // check Nan
v_bfe_u32 v6, v[vgprValuC+226], 16, 1              // Non-Nan case: store lsb of bf16
v_add3_u32 v6, v[vgprValuC+226], v6, v9            // Non-Nan case: add lsb and the increment for rounding
v_cndmask_b32 v[vgprValuC+226], v6, v8, s[52:53]   // 
v_lshrrev_b32 v[vgprValuC+226], 16, v[vgprValuC+226] // convert C to bf16
v_cmp_u_f32 s[52:53], v[vgprValuC+227], v[vgprValuC+227] // check Nan
v_bfe_u32 v6, v[vgprValuC+227], 16, 1              // Non-Nan case: store lsb of bf16
v_add3_u32 v6, v[vgprValuC+227], v6, v9            // Non-Nan case: add lsb and the increment for rounding
v_cndmask_b32 v[vgprValuC+227], v6, v8, s[52:53]   // 
v_and_or_b32 v226, v[vgprValuC+227], v7, v[vgprValuC+226] // pack two bf16 to dword
	;; [unrolled: 17-line block ×4, first 2 shown]
s_lshl_b32  s52, s[sgprStrideD1J], 1               // incToNextRow: Scale by BPE
s_add_u32  s[sgprSrdD+0], s[sgprSrdD+0], s52       // incToNextRow: gra SRD += inc(lower)
s_addc_u32  s[sgprSrdD+1], s[sgprSrdD+1], 0        // incToNextRow: gra SRD += inc(upper)
_buffer_store_b32 v232, v10, s[sgprSrdD:sgprSrdD+3], 0, offen, offset:0,  sc0 sc1 // store D

s_waitcnt vmcnt(63)                                // wait C (interleaved) 77 = 78 - 73 + 73 - 1
v_lshlrev_b32 v4, 16, v234                         // convert bf16 to fp32
_v_mac_f32 v[vgprValuC+236], v4, s[sgprBeta]       // finalSum = sum*alpha + C*beta
v_and_b32 v4, v234, v7                             // convert bf16 to fp32
_v_mac_f32 v[vgprValuC+237], v4, s[sgprBeta]       // finalSum = sum*alpha + C*beta
v_cmp_u_f32 s[52:53], v[vgprValuC+236], v[vgprValuC+236] // check Nan
v_bfe_u32 v6, v[vgprValuC+236], 16, 1              // Non-Nan case: store lsb of bf16
v_add3_u32 v6, v[vgprValuC+236], v6, v9            // Non-Nan case: add lsb and the increment for rounding
v_cndmask_b32 v[vgprValuC+236], v6, v8, s[52:53]   // 
v_lshrrev_b32 v[vgprValuC+236], 16, v[vgprValuC+236] // convert C to bf16
v_cmp_u_f32 s[52:53], v[vgprValuC+237], v[vgprValuC+237] // check Nan
v_bfe_u32 v6, v[vgprValuC+237], 16, 1              // Non-Nan case: store lsb of bf16
v_add3_u32 v6, v[vgprValuC+237], v6, v9            // Non-Nan case: add lsb and the increment for rounding
v_cndmask_b32 v[vgprValuC+237], v6, v8, s[52:53]   // 
v_and_or_b32 v236, v[vgprValuC+237], v7, v[vgprValuC+236] // pack two bf16 to dword
_buffer_store_b32 v236, v10, s[sgprSrdD:sgprSrdD+3], 0, offen, offset:128,  sc0 sc1 // store D

s_waitcnt vmcnt(63)                                // wait C (interleaved) 77 = 78 - 74 + 74 - 1
v_lshlrev_b32 v4, 16, v235                         // convert bf16 to fp32
_v_mac_f32 v[vgprValuC+238], v4, s[sgprBeta]       // finalSum = sum*alpha + C*beta
v_and_b32 v4, v235, v7                             // convert bf16 to fp32
_v_mac_f32 v[vgprValuC+239], v4, s[sgprBeta]       // finalSum = sum*alpha + C*beta
v_cmp_u_f32 s[52:53], v[vgprValuC+238], v[vgprValuC+238] // check Nan
v_bfe_u32 v6, v[vgprValuC+238], 16, 1              // Non-Nan case: store lsb of bf16
v_add3_u32 v6, v[vgprValuC+238], v6, v9            // Non-Nan case: add lsb and the increment for rounding
v_cndmask_b32 v[vgprValuC+238], v6, v8, s[52:53]   // 
v_lshrrev_b32 v[vgprValuC+238], 16, v[vgprValuC+238] // convert C to bf16
v_cmp_u_f32 s[52:53], v[vgprValuC+239], v[vgprValuC+239] // check Nan
v_bfe_u32 v6, v[vgprValuC+239], 16, 1              // Non-Nan case: store lsb of bf16
v_add3_u32 v6, v[vgprValuC+239], v6, v9            // Non-Nan case: add lsb and the increment for rounding
v_cndmask_b32 v[vgprValuC+239], v6, v8, s[52:53]   // 
v_and_or_b32 v238, v[vgprValuC+239], v7, v[vgprValuC+238] // pack two bf16 to dword
	;; [unrolled: 17-line block ×4, first 2 shown]
s_lshl_b32  s52, s[sgprStrideD1J], 1               // incToNextRow: Scale by BPE
s_add_u32  s[sgprSrdD+0], s[sgprSrdD+0], s52       // incToNextRow: gra SRD += inc(lower)
s_addc_u32  s[sgprSrdD+1], s[sgprSrdD+1], 0        // incToNextRow: gra SRD += inc(upper)
_buffer_store_b32 v244, v10, s[sgprSrdD:sgprSrdD+3], 0, offen, offset:0,  sc0 sc1 // store D

s_waitcnt vmcnt(63)                                // wait C (interleaved) 77 = 78 - 77 + 77 - 1
v_lshlrev_b32 v4, 16, v246                         // convert bf16 to fp32
_v_mac_f32 v[vgprValuC+248], v4, s[sgprBeta]       // finalSum = sum*alpha + C*beta
v_and_b32 v4, v246, v7                             // convert bf16 to fp32
_v_mac_f32 v[vgprValuC+249], v4, s[sgprBeta]       // finalSum = sum*alpha + C*beta
v_cmp_u_f32 s[52:53], v[vgprValuC+248], v[vgprValuC+248] // check Nan
v_bfe_u32 v6, v[vgprValuC+248], 16, 1              // Non-Nan case: store lsb of bf16
v_add3_u32 v6, v[vgprValuC+248], v6, v9            // Non-Nan case: add lsb and the increment for rounding
v_cndmask_b32 v[vgprValuC+248], v6, v8, s[52:53]   // 
v_lshrrev_b32 v[vgprValuC+248], 16, v[vgprValuC+248] // convert C to bf16
v_cmp_u_f32 s[52:53], v[vgprValuC+249], v[vgprValuC+249] // check Nan
v_bfe_u32 v6, v[vgprValuC+249], 16, 1              // Non-Nan case: store lsb of bf16
v_add3_u32 v6, v[vgprValuC+249], v6, v9            // Non-Nan case: add lsb and the increment for rounding
v_cndmask_b32 v[vgprValuC+249], v6, v8, s[52:53]   // 
v_and_or_b32 v248, v[vgprValuC+249], v7, v[vgprValuC+248] // pack two bf16 to dword
_buffer_store_b32 v248, v10, s[sgprSrdD:sgprSrdD+3], 0, offen, offset:128,  sc0 sc1 // store D
s_nop 0                                            // 1 wait state required when next inst writes vgprs held by previous dwordx4 store inst
/* optSingleColVgpr=1 optSharedColVgpr=0 optSGPRUsage=BufferLoad_Mask optSrdIncForRow=1 */

/******************************************/
/* Global Write Alpha Beta Batch #1 (d1,d0,vc1,vc0) = */
/*    (4,2,3,0:vw2); (4,3,3,0:vw2); (5,0,0,0:vw2); (5,1,0,0:vw2); (5,2,0,0:vw2); (5,3,0,0:vw2); (5,0,1,0:vw2); (5,1,1,0:vw2); (5,2,1,0:vw2); (5,3,1,0:vw2); (5,0,2,0:vw2); (5,1,2,0:vw2); (5,2,2,0:vw2); (5,3,2,0:vw2); (5,0,3,0:vw2); (5,1,3,0:vw2); (5,2,3,0:vw2); (5,3,3,0:vw2); (6,0,0,0:vw2); (6,1,0,0:vw2); (6,2,0,0:vw2); (6,3,0,0:vw2); (6,0,1,0:vw2); (6,1,1,0:vw2); (6,2,1,0:vw2); (6,3,1,0:vw2); (6,0,2,0:vw2); (6,1,2,0:vw2); (6,2,2,0:vw2); (6,3,2,0:vw2); (6,0,3,0:vw2); (6,1,3,0:vw2); (6,2,3,0:vw2); (6,3,3,0:vw2); (7,0,0,0:vw2); (7,1,0,0:vw2); (7,2,0,0:vw2); (7,3,0,0:vw2); (7,0,1,0:vw2); (7,1,1,0:vw2); (7,2,1,0:vw2); (7,3,1,0:vw2); (7,0,2,0:vw2); (7,1,2,0:vw2); (7,2,2,0:vw2); (7,3,2,0:vw2); (7,0,3,0:vw2); (7,1,3,0:vw2); (7,2,3,0:vw2); (7,3,3,0:vw2) */
/******************************************/

/* calc coords, apply mask, and issue loads (if necessary) */
/* (d1,vc1,d0,vc0)=(4,3,2,0) */
_buffer_load_b32 v12, v11, s[sgprSrdC:sgprSrdC+3], 0, offen offset:256,  sc0 sc1 // load C for beta calc
/* (d1,vc1,d0,vc0)=(4,3,3,0) */
_buffer_load_b32 v13, v11, s[sgprSrdC:sgprSrdC+3], 0, offen offset:384,  sc0 sc1 // load C for beta calc
/* (d1,vc1,d0,vc0)=(5,0,0,0) */
s_mul_i32 s52, s[sgprStrideC1J], 58                // scale StrideC *= numRows(29) * bpe
s_add_u32  s[sgprSrdC+0], s[sgprSrdC+0], s52       // incToNextRow: gra SRD += inc(lower)
s_addc_u32  s[sgprSrdC+1], s[sgprSrdC+1], 0        // incToNextRow: gra SRD += inc(upper)
_buffer_load_b32 v18, v11, s[sgprSrdC:sgprSrdC+3], 0, offen offset:0,  sc0 sc1 // load C for beta calc
/* (d1,vc1,d0,vc0)=(5,0,1,0) */
_buffer_load_b32 v19, v11, s[sgprSrdC:sgprSrdC+3], 0, offen offset:128,  sc0 sc1 // load C for beta calc
/* (d1,vc1,d0,vc0)=(5,0,2,0) */
_buffer_load_b32 v24, v11, s[sgprSrdC:sgprSrdC+3], 0, offen offset:256,  sc0 sc1 // load C for beta calc
/* (d1,vc1,d0,vc0)=(5,0,3,0) */
_buffer_load_b32 v25, v11, s[sgprSrdC:sgprSrdC+3], 0, offen offset:384,  sc0 sc1 // load C for beta calc
/* (d1,vc1,d0,vc0)=(5,1,0,0) */
s_lshl_b32  s52, s[sgprStrideC1J], 1               // incToNextRow: Scale by BPE
s_add_u32  s[sgprSrdC+0], s[sgprSrdC+0], s52       // incToNextRow: gra SRD += inc(lower)
s_addc_u32  s[sgprSrdC+1], s[sgprSrdC+1], 0        // incToNextRow: gra SRD += inc(upper)
_buffer_load_b32 v30, v11, s[sgprSrdC:sgprSrdC+3], 0, offen offset:0,  sc0 sc1 // load C for beta calc
/* (d1,vc1,d0,vc0)=(5,1,1,0) */
_buffer_load_b32 v31, v11, s[sgprSrdC:sgprSrdC+3], 0, offen offset:128,  sc0 sc1 // load C for beta calc
/* (d1,vc1,d0,vc0)=(5,1,2,0) */
_buffer_load_b32 v36, v11, s[sgprSrdC:sgprSrdC+3], 0, offen offset:256,  sc0 sc1 // load C for beta calc
/* (d1,vc1,d0,vc0)=(5,1,3,0) */
_buffer_load_b32 v37, v11, s[sgprSrdC:sgprSrdC+3], 0, offen offset:384,  sc0 sc1 // load C for beta calc
/* (d1,vc1,d0,vc0)=(5,2,0,0) */
s_lshl_b32  s52, s[sgprStrideC1J], 1               // incToNextRow: Scale by BPE
s_add_u32  s[sgprSrdC+0], s[sgprSrdC+0], s52       // incToNextRow: gra SRD += inc(lower)
s_addc_u32  s[sgprSrdC+1], s[sgprSrdC+1], 0        // incToNextRow: gra SRD += inc(upper)
_buffer_load_b32 v42, v11, s[sgprSrdC:sgprSrdC+3], 0, offen offset:0,  sc0 sc1 // load C for beta calc
/* (d1,vc1,d0,vc0)=(5,2,1,0) */
_buffer_load_b32 v43, v11, s[sgprSrdC:sgprSrdC+3], 0, offen offset:128,  sc0 sc1 // load C for beta calc
/* (d1,vc1,d0,vc0)=(5,2,2,0) */
_buffer_load_b32 v48, v11, s[sgprSrdC:sgprSrdC+3], 0, offen offset:256,  sc0 sc1 // load C for beta calc
/* (d1,vc1,d0,vc0)=(5,2,3,0) */
_buffer_load_b32 v49, v11, s[sgprSrdC:sgprSrdC+3], 0, offen offset:384,  sc0 sc1 // load C for beta calc
/* (d1,vc1,d0,vc0)=(5,3,0,0) */
s_lshl_b32  s52, s[sgprStrideC1J], 1               // incToNextRow: Scale by BPE
s_add_u32  s[sgprSrdC+0], s[sgprSrdC+0], s52       // incToNextRow: gra SRD += inc(lower)
s_addc_u32  s[sgprSrdC+1], s[sgprSrdC+1], 0        // incToNextRow: gra SRD += inc(upper)
_buffer_load_b32 v54, v11, s[sgprSrdC:sgprSrdC+3], 0, offen offset:0,  sc0 sc1 // load C for beta calc
/* (d1,vc1,d0,vc0)=(5,3,1,0) */
_buffer_load_b32 v55, v11, s[sgprSrdC:sgprSrdC+3], 0, offen offset:128,  sc0 sc1 // load C for beta calc
/* (d1,vc1,d0,vc0)=(5,3,2,0) */
_buffer_load_b32 v60, v11, s[sgprSrdC:sgprSrdC+3], 0, offen offset:256,  sc0 sc1 // load C for beta calc
/* (d1,vc1,d0,vc0)=(5,3,3,0) */
_buffer_load_b32 v61, v11, s[sgprSrdC:sgprSrdC+3], 0, offen offset:384,  sc0 sc1 // load C for beta calc
/* (d1,vc1,d0,vc0)=(6,0,0,0) */
s_mul_i32 s52, s[sgprStrideC1J], 58                // scale StrideC *= numRows(29) * bpe
s_add_u32  s[sgprSrdC+0], s[sgprSrdC+0], s52       // incToNextRow: gra SRD += inc(lower)
s_addc_u32  s[sgprSrdC+1], s[sgprSrdC+1], 0        // incToNextRow: gra SRD += inc(upper)
_buffer_load_b32 v66, v11, s[sgprSrdC:sgprSrdC+3], 0, offen offset:0,  sc0 sc1 // load C for beta calc
/* (d1,vc1,d0,vc0)=(6,0,1,0) */
_buffer_load_b32 v67, v11, s[sgprSrdC:sgprSrdC+3], 0, offen offset:128,  sc0 sc1 // load C for beta calc
/* (d1,vc1,d0,vc0)=(6,0,2,0) */
_buffer_load_b32 v72, v11, s[sgprSrdC:sgprSrdC+3], 0, offen offset:256,  sc0 sc1 // load C for beta calc
/* (d1,vc1,d0,vc0)=(6,0,3,0) */
_buffer_load_b32 v73, v11, s[sgprSrdC:sgprSrdC+3], 0, offen offset:384,  sc0 sc1 // load C for beta calc
/* (d1,vc1,d0,vc0)=(6,1,0,0) */
s_lshl_b32  s52, s[sgprStrideC1J], 1               // incToNextRow: Scale by BPE
s_add_u32  s[sgprSrdC+0], s[sgprSrdC+0], s52       // incToNextRow: gra SRD += inc(lower)
s_addc_u32  s[sgprSrdC+1], s[sgprSrdC+1], 0        // incToNextRow: gra SRD += inc(upper)
_buffer_load_b32 v78, v11, s[sgprSrdC:sgprSrdC+3], 0, offen offset:0,  sc0 sc1 // load C for beta calc
/* (d1,vc1,d0,vc0)=(6,1,1,0) */
_buffer_load_b32 v79, v11, s[sgprSrdC:sgprSrdC+3], 0, offen offset:128,  sc0 sc1 // load C for beta calc
/* (d1,vc1,d0,vc0)=(6,1,2,0) */
_buffer_load_b32 v84, v11, s[sgprSrdC:sgprSrdC+3], 0, offen offset:256,  sc0 sc1 // load C for beta calc
/* (d1,vc1,d0,vc0)=(6,1,3,0) */
_buffer_load_b32 v85, v11, s[sgprSrdC:sgprSrdC+3], 0, offen offset:384,  sc0 sc1 // load C for beta calc
/* (d1,vc1,d0,vc0)=(6,2,0,0) */
s_lshl_b32  s52, s[sgprStrideC1J], 1               // incToNextRow: Scale by BPE
s_add_u32  s[sgprSrdC+0], s[sgprSrdC+0], s52       // incToNextRow: gra SRD += inc(lower)
s_addc_u32  s[sgprSrdC+1], s[sgprSrdC+1], 0        // incToNextRow: gra SRD += inc(upper)
_buffer_load_b32 v90, v11, s[sgprSrdC:sgprSrdC+3], 0, offen offset:0,  sc0 sc1 // load C for beta calc
/* (d1,vc1,d0,vc0)=(6,2,1,0) */
_buffer_load_b32 v91, v11, s[sgprSrdC:sgprSrdC+3], 0, offen offset:128,  sc0 sc1 // load C for beta calc
/* (d1,vc1,d0,vc0)=(6,2,2,0) */
_buffer_load_b32 v96, v11, s[sgprSrdC:sgprSrdC+3], 0, offen offset:256,  sc0 sc1 // load C for beta calc
/* (d1,vc1,d0,vc0)=(6,2,3,0) */
_buffer_load_b32 v97, v11, s[sgprSrdC:sgprSrdC+3], 0, offen offset:384,  sc0 sc1 // load C for beta calc
/* (d1,vc1,d0,vc0)=(6,3,0,0) */
s_lshl_b32  s52, s[sgprStrideC1J], 1               // incToNextRow: Scale by BPE
s_add_u32  s[sgprSrdC+0], s[sgprSrdC+0], s52       // incToNextRow: gra SRD += inc(lower)
s_addc_u32  s[sgprSrdC+1], s[sgprSrdC+1], 0        // incToNextRow: gra SRD += inc(upper)
_buffer_load_b32 v102, v11, s[sgprSrdC:sgprSrdC+3], 0, offen offset:0,  sc0 sc1 // load C for beta calc
/* (d1,vc1,d0,vc0)=(6,3,1,0) */
_buffer_load_b32 v103, v11, s[sgprSrdC:sgprSrdC+3], 0, offen offset:128,  sc0 sc1 // load C for beta calc
	;; [unrolled: 44-line block ×3, first 2 shown]
/* (d1,vc1,d0,vc0)=(7,3,2,0) */
_buffer_load_b32 v157, v11, s[sgprSrdC:sgprSrdC+3], 0, offen offset:256,  sc0 sc1 // load C for beta calc
/* (d1,vc1,d0,vc0)=(7,3,3,0) */
_buffer_load_b32 v162, v11, s[sgprSrdC:sgprSrdC+3], 0, offen offset:384,  sc0 sc1 // load C for beta calc
v_accvgpr_read_b32 v[vgprValuC+14], acc147 // copy acc to vreg[156]
v_accvgpr_read_b32 v[vgprValuC+15], acc151 // copy acc to vreg[157]
v_accvgpr_read_b32 v[vgprValuC+16], acc155 // copy acc to vreg[158]
v_accvgpr_read_b32 v[vgprValuC+17], acc159 // copy acc to vreg[159]
v_accvgpr_read_b32 v[vgprValuC+20], acc160 // copy acc to vreg[160]
v_accvgpr_read_b32 v[vgprValuC+21], acc164 // copy acc to vreg[161]
v_accvgpr_read_b32 v[vgprValuC+22], acc168 // copy acc to vreg[162]
v_accvgpr_read_b32 v[vgprValuC+23], acc172 // copy acc to vreg[163]
v_accvgpr_read_b32 v[vgprValuC+26], acc176 // copy acc to vreg[164]
v_accvgpr_read_b32 v[vgprValuC+27], acc180 // copy acc to vreg[165]
v_accvgpr_read_b32 v[vgprValuC+28], acc184 // copy acc to vreg[166]
v_accvgpr_read_b32 v[vgprValuC+29], acc188 // copy acc to vreg[167]
v_accvgpr_read_b32 v[vgprValuC+32], acc161 // copy acc to vreg[168]
v_accvgpr_read_b32 v[vgprValuC+33], acc165 // copy acc to vreg[169]
v_accvgpr_read_b32 v[vgprValuC+34], acc169 // copy acc to vreg[170]
v_accvgpr_read_b32 v[vgprValuC+35], acc173 // copy acc to vreg[171]
v_accvgpr_read_b32 v[vgprValuC+38], acc177 // copy acc to vreg[172]
v_accvgpr_read_b32 v[vgprValuC+39], acc181 // copy acc to vreg[173]
v_accvgpr_read_b32 v[vgprValuC+40], acc185 // copy acc to vreg[174]
v_accvgpr_read_b32 v[vgprValuC+41], acc189 // copy acc to vreg[175]
v_accvgpr_read_b32 v[vgprValuC+44], acc162 // copy acc to vreg[176]
v_accvgpr_read_b32 v[vgprValuC+45], acc166 // copy acc to vreg[177]
v_accvgpr_read_b32 v[vgprValuC+46], acc170 // copy acc to vreg[178]
v_accvgpr_read_b32 v[vgprValuC+47], acc174 // copy acc to vreg[179]
v_accvgpr_read_b32 v[vgprValuC+50], acc178 // copy acc to vreg[180]
v_accvgpr_read_b32 v[vgprValuC+51], acc182 // copy acc to vreg[181]
v_accvgpr_read_b32 v[vgprValuC+52], acc186 // copy acc to vreg[182]
v_accvgpr_read_b32 v[vgprValuC+53], acc190 // copy acc to vreg[183]
v_accvgpr_read_b32 v[vgprValuC+56], acc163 // copy acc to vreg[184]
v_accvgpr_read_b32 v[vgprValuC+57], acc167 // copy acc to vreg[185]
v_accvgpr_read_b32 v[vgprValuC+58], acc171 // copy acc to vreg[186]
v_accvgpr_read_b32 v[vgprValuC+59], acc175 // copy acc to vreg[187]
v_accvgpr_read_b32 v[vgprValuC+62], acc179 // copy acc to vreg[188]
v_accvgpr_read_b32 v[vgprValuC+63], acc183 // copy acc to vreg[189]
v_accvgpr_read_b32 v[vgprValuC+64], acc187 // copy acc to vreg[190]
v_accvgpr_read_b32 v[vgprValuC+65], acc191 // copy acc to vreg[191]
v_accvgpr_read_b32 v[vgprValuC+68], acc192 // copy acc to vreg[192]
v_accvgpr_read_b32 v[vgprValuC+69], acc196 // copy acc to vreg[193]
v_accvgpr_read_b32 v[vgprValuC+70], acc200 // copy acc to vreg[194]
v_accvgpr_read_b32 v[vgprValuC+71], acc204 // copy acc to vreg[195]
v_accvgpr_read_b32 v[vgprValuC+74], acc208 // copy acc to vreg[196]
v_accvgpr_read_b32 v[vgprValuC+75], acc212 // copy acc to vreg[197]
v_accvgpr_read_b32 v[vgprValuC+76], acc216 // copy acc to vreg[198]
v_accvgpr_read_b32 v[vgprValuC+77], acc220 // copy acc to vreg[199]
v_accvgpr_read_b32 v[vgprValuC+80], acc193 // copy acc to vreg[200]
v_accvgpr_read_b32 v[vgprValuC+81], acc197 // copy acc to vreg[201]
v_accvgpr_read_b32 v[vgprValuC+82], acc201 // copy acc to vreg[202]
v_accvgpr_read_b32 v[vgprValuC+83], acc205 // copy acc to vreg[203]
v_accvgpr_read_b32 v[vgprValuC+86], acc209 // copy acc to vreg[204]
v_accvgpr_read_b32 v[vgprValuC+87], acc213 // copy acc to vreg[205]
v_accvgpr_read_b32 v[vgprValuC+88], acc217 // copy acc to vreg[206]
v_accvgpr_read_b32 v[vgprValuC+89], acc221 // copy acc to vreg[207]
v_accvgpr_read_b32 v[vgprValuC+92], acc194 // copy acc to vreg[208]
v_accvgpr_read_b32 v[vgprValuC+93], acc198 // copy acc to vreg[209]
v_accvgpr_read_b32 v[vgprValuC+94], acc202 // copy acc to vreg[210]
v_accvgpr_read_b32 v[vgprValuC+95], acc206 // copy acc to vreg[211]
v_accvgpr_read_b32 v[vgprValuC+98], acc210 // copy acc to vreg[212]
v_accvgpr_read_b32 v[vgprValuC+99], acc214 // copy acc to vreg[213]
v_accvgpr_read_b32 v[vgprValuC+100], acc218 // copy acc to vreg[214]
v_accvgpr_read_b32 v[vgprValuC+101], acc222 // copy acc to vreg[215]
v_accvgpr_read_b32 v[vgprValuC+104], acc195 // copy acc to vreg[216]
v_accvgpr_read_b32 v[vgprValuC+105], acc199 // copy acc to vreg[217]
v_accvgpr_read_b32 v[vgprValuC+106], acc203 // copy acc to vreg[218]
v_accvgpr_read_b32 v[vgprValuC+107], acc207 // copy acc to vreg[219]
v_accvgpr_read_b32 v[vgprValuC+110], acc211 // copy acc to vreg[220]
v_accvgpr_read_b32 v[vgprValuC+111], acc215 // copy acc to vreg[221]
v_accvgpr_read_b32 v[vgprValuC+112], acc219 // copy acc to vreg[222]
v_accvgpr_read_b32 v[vgprValuC+113], acc223 // copy acc to vreg[223]
v_accvgpr_read_b32 v[vgprValuC+116], acc224 // copy acc to vreg[224]
v_accvgpr_read_b32 v[vgprValuC+117], acc228 // copy acc to vreg[225]
v_accvgpr_read_b32 v[vgprValuC+118], acc232 // copy acc to vreg[226]
v_accvgpr_read_b32 v[vgprValuC+119], acc236 // copy acc to vreg[227]
v_accvgpr_read_b32 v[vgprValuC+122], acc240 // copy acc to vreg[228]
v_accvgpr_read_b32 v[vgprValuC+123], acc244 // copy acc to vreg[229]
v_accvgpr_read_b32 v[vgprValuC+124], acc248 // copy acc to vreg[230]
v_accvgpr_read_b32 v[vgprValuC+125], acc252 // copy acc to vreg[231]
v_accvgpr_read_b32 v[vgprValuC+128], acc225 // copy acc to vreg[232]
v_accvgpr_read_b32 v[vgprValuC+129], acc229 // copy acc to vreg[233]
v_accvgpr_read_b32 v[vgprValuC+130], acc233 // copy acc to vreg[234]
v_accvgpr_read_b32 v[vgprValuC+131], acc237 // copy acc to vreg[235]
v_accvgpr_read_b32 v[vgprValuC+134], acc241 // copy acc to vreg[236]
v_accvgpr_read_b32 v[vgprValuC+135], acc245 // copy acc to vreg[237]
v_accvgpr_read_b32 v[vgprValuC+136], acc249 // copy acc to vreg[238]
v_accvgpr_read_b32 v[vgprValuC+137], acc253 // copy acc to vreg[239]
v_accvgpr_read_b32 v[vgprValuC+140], acc226 // copy acc to vreg[240]
v_accvgpr_read_b32 v[vgprValuC+141], acc230 // copy acc to vreg[241]
v_accvgpr_read_b32 v[vgprValuC+142], acc234 // copy acc to vreg[242]
v_accvgpr_read_b32 v[vgprValuC+143], acc238 // copy acc to vreg[243]
v_accvgpr_read_b32 v[vgprValuC+146], acc242 // copy acc to vreg[244]
v_accvgpr_read_b32 v[vgprValuC+147], acc246 // copy acc to vreg[245]
v_accvgpr_read_b32 v[vgprValuC+152], acc250 // copy acc to vreg[246]
v_accvgpr_read_b32 v[vgprValuC+153], acc254 // copy acc to vreg[247]
v_accvgpr_read_b32 v[vgprValuC+154], acc227 // copy acc to vreg[248]
v_accvgpr_read_b32 v[vgprValuC+155], acc231 // copy acc to vreg[249]
v_accvgpr_read_b32 v[vgprValuC+158], acc235 // copy acc to vreg[250]
v_accvgpr_read_b32 v[vgprValuC+159], acc239 // copy acc to vreg[251]
v_accvgpr_read_b32 v[vgprValuC+160], acc243 // copy acc to vreg[252]
v_accvgpr_read_b32 v[vgprValuC+161], acc247 // copy acc to vreg[253]
v_accvgpr_read_b32 v[vgprValuC+164], acc251 // copy acc to vreg[254]
v_accvgpr_read_b32 v[vgprValuC+165], acc255 // copy acc to vreg[255]
s_nop 1                                            // 2 wait states required before reading vgpr

/* rC *= alpha batchElements=[(4, 2, 3, 0), (4, 3, 3, 0), (5, 0, 0, 0), (5, 1, 0, 0), (5, 2, 0, 0), (5, 3, 0, 0), (5, 0, 1, 0), (5, 1, 1, 0), (5, 2, 1, 0), (5, 3, 1, 0), (5, 0, 2, 0), (5, 1, 2, 0), (5, 2, 2, 0), (5, 3, 2, 0), (5, 0, 3, 0), (5, 1, 3, 0), (5, 2, 3, 0), (5, 3, 3, 0), (6, 0, 0, 0), (6, 1, 0, 0), (6, 2, 0, 0), (6, 3, 0, 0), (6, 0, 1, 0), (6, 1, 1, 0), (6, 2, 1, 0), (6, 3, 1, 0), (6, 0, 2, 0), (6, 1, 2, 0), (6, 2, 2, 0), (6, 3, 2, 0), (6, 0, 3, 0), (6, 1, 3, 0), (6, 2, 3, 0), (6, 3, 3, 0), (7, 0, 0, 0), (7, 1, 0, 0), (7, 2, 0, 0), (7, 3, 0, 0), (7, 0, 1, 0), (7, 1, 1, 0), (7, 2, 1, 0), (7, 3, 1, 0), (7, 0, 2, 0), (7, 1, 2, 0), (7, 2, 2, 0), (7, 3, 2, 0), (7, 0, 3, 0), (7, 1, 3, 0), (7, 2, 3, 0), (7, 3, 3, 0)] */
v_mul_f32 v[vgprValuC+14], s[sgprAlpha], v[vgprValuC+14] // *= alpha
v_mul_f32 v[vgprValuC+15], s[sgprAlpha], v[vgprValuC+15] // *= alpha
	;; [unrolled: 1-line block ×100, first 2 shown]

/* apply mask, calc new C and issue writes */
v_mov_b32 v7, 0xffff0000                           // mask for pack two bfloat16 element to 32bit
v_mov_b32 v8, 0x7fff0000                           // fp32 Nan
v_mov_b32 v9, 0x7fff                               // rounding bias for bfloat16

s_waitcnt vmcnt(49)                                // wait C (interleaved) 49 = 50 - 0 + 0 - 1
v_lshlrev_b32 v4, 16, v12                          // convert bf16 to fp32
_v_mac_f32 v[vgprValuC+14], v4, s[sgprBeta]        // finalSum = sum*alpha + C*beta
v_and_b32 v4, v12, v7                              // convert bf16 to fp32
_v_mac_f32 v[vgprValuC+15], v4, s[sgprBeta]        // finalSum = sum*alpha + C*beta
v_cmp_u_f32 s[52:53], v[vgprValuC+14], v[vgprValuC+14] // check Nan
v_bfe_u32 v6, v[vgprValuC+14], 16, 1               // Non-Nan case: store lsb of bf16
v_add3_u32 v6, v[vgprValuC+14], v6, v9             // Non-Nan case: add lsb and the increment for rounding
v_cndmask_b32 v[vgprValuC+14], v6, v8, s[52:53]    // 
v_lshrrev_b32 v[vgprValuC+14], 16, v[vgprValuC+14] // convert C to bf16
v_cmp_u_f32 s[52:53], v[vgprValuC+15], v[vgprValuC+15] // check Nan
v_bfe_u32 v6, v[vgprValuC+15], 16, 1               // Non-Nan case: store lsb of bf16
v_add3_u32 v6, v[vgprValuC+15], v6, v9             // Non-Nan case: add lsb and the increment for rounding
v_cndmask_b32 v[vgprValuC+15], v6, v8, s[52:53]    // 
v_and_or_b32 v14, v[vgprValuC+15], v7, v[vgprValuC+14] // pack two bf16 to dword
_buffer_store_b32 v14, v10, s[sgprSrdD:sgprSrdD+3], 0, offen, offset:256,  sc0 sc1 // store D

s_waitcnt vmcnt(49)                                // wait C (interleaved) 49 = 50 - 1 + 1 - 1
v_lshlrev_b32 v4, 16, v13                          // convert bf16 to fp32
_v_mac_f32 v[vgprValuC+16], v4, s[sgprBeta]        // finalSum = sum*alpha + C*beta
v_and_b32 v4, v13, v7                              // convert bf16 to fp32
_v_mac_f32 v[vgprValuC+17], v4, s[sgprBeta]        // finalSum = sum*alpha + C*beta
v_cmp_u_f32 s[52:53], v[vgprValuC+16], v[vgprValuC+16] // check Nan
v_bfe_u32 v6, v[vgprValuC+16], 16, 1               // Non-Nan case: store lsb of bf16
v_add3_u32 v6, v[vgprValuC+16], v6, v9             // Non-Nan case: add lsb and the increment for rounding
v_cndmask_b32 v[vgprValuC+16], v6, v8, s[52:53]    // 
v_lshrrev_b32 v[vgprValuC+16], 16, v[vgprValuC+16] // convert C to bf16
v_cmp_u_f32 s[52:53], v[vgprValuC+17], v[vgprValuC+17] // check Nan
v_bfe_u32 v6, v[vgprValuC+17], 16, 1               // Non-Nan case: store lsb of bf16
v_add3_u32 v6, v[vgprValuC+17], v6, v9             // Non-Nan case: add lsb and the increment for rounding
v_cndmask_b32 v[vgprValuC+17], v6, v8, s[52:53]    // 
v_and_or_b32 v16, v[vgprValuC+17], v7, v[vgprValuC+16] // pack two bf16 to dword
_buffer_store_b32 v16, v10, s[sgprSrdD:sgprSrdD+3], 0, offen, offset:384,  sc0 sc1 // store D

s_waitcnt vmcnt(49)                                // wait C (interleaved) 49 = 50 - 2 + 2 - 1
v_lshlrev_b32 v4, 16, v18                          // convert bf16 to fp32
_v_mac_f32 v[vgprValuC+20], v4, s[sgprBeta]        // finalSum = sum*alpha + C*beta
v_and_b32 v4, v18, v7                              // convert bf16 to fp32
_v_mac_f32 v[vgprValuC+21], v4, s[sgprBeta]        // finalSum = sum*alpha + C*beta
v_cmp_u_f32 s[52:53], v[vgprValuC+20], v[vgprValuC+20] // check Nan
v_bfe_u32 v6, v[vgprValuC+20], 16, 1               // Non-Nan case: store lsb of bf16
v_add3_u32 v6, v[vgprValuC+20], v6, v9             // Non-Nan case: add lsb and the increment for rounding
v_cndmask_b32 v[vgprValuC+20], v6, v8, s[52:53]    // 
v_lshrrev_b32 v[vgprValuC+20], 16, v[vgprValuC+20] // convert C to bf16
v_cmp_u_f32 s[52:53], v[vgprValuC+21], v[vgprValuC+21] // check Nan
v_bfe_u32 v6, v[vgprValuC+21], 16, 1               // Non-Nan case: store lsb of bf16
v_add3_u32 v6, v[vgprValuC+21], v6, v9             // Non-Nan case: add lsb and the increment for rounding
v_cndmask_b32 v[vgprValuC+21], v6, v8, s[52:53]    // 
v_and_or_b32 v20, v[vgprValuC+21], v7, v[vgprValuC+20] // pack two bf16 to dword
s_mul_i32 s52, s[sgprStrideD1J], 58                // scale StrideD *= numRows(29) * bpe
s_add_u32  s[sgprSrdD+0], s[sgprSrdD+0], s52       // incToNextRow: gra SRD += inc(lower)
s_addc_u32  s[sgprSrdD+1], s[sgprSrdD+1], 0        // incToNextRow: gra SRD += inc(upper)
_buffer_store_b32 v20, v10, s[sgprSrdD:sgprSrdD+3], 0, offen, offset:0,  sc0 sc1 // store D

s_waitcnt vmcnt(49)                                // wait C (interleaved) 49 = 50 - 3 + 3 - 1
v_lshlrev_b32 v4, 16, v19                          // convert bf16 to fp32
_v_mac_f32 v[vgprValuC+22], v4, s[sgprBeta]        // finalSum = sum*alpha + C*beta
v_and_b32 v4, v19, v7                              // convert bf16 to fp32
_v_mac_f32 v[vgprValuC+23], v4, s[sgprBeta]        // finalSum = sum*alpha + C*beta
v_cmp_u_f32 s[52:53], v[vgprValuC+22], v[vgprValuC+22] // check Nan
v_bfe_u32 v6, v[vgprValuC+22], 16, 1               // Non-Nan case: store lsb of bf16
v_add3_u32 v6, v[vgprValuC+22], v6, v9             // Non-Nan case: add lsb and the increment for rounding
v_cndmask_b32 v[vgprValuC+22], v6, v8, s[52:53]    // 
v_lshrrev_b32 v[vgprValuC+22], 16, v[vgprValuC+22] // convert C to bf16
v_cmp_u_f32 s[52:53], v[vgprValuC+23], v[vgprValuC+23] // check Nan
v_bfe_u32 v6, v[vgprValuC+23], 16, 1               // Non-Nan case: store lsb of bf16
v_add3_u32 v6, v[vgprValuC+23], v6, v9             // Non-Nan case: add lsb and the increment for rounding
v_cndmask_b32 v[vgprValuC+23], v6, v8, s[52:53]    // 
v_and_or_b32 v22, v[vgprValuC+23], v7, v[vgprValuC+22] // pack two bf16 to dword
_buffer_store_b32 v22, v10, s[sgprSrdD:sgprSrdD+3], 0, offen, offset:128,  sc0 sc1 // store D

s_waitcnt vmcnt(49)                                // wait C (interleaved) 49 = 50 - 4 + 4 - 1
v_lshlrev_b32 v4, 16, v24                          // convert bf16 to fp32
_v_mac_f32 v[vgprValuC+26], v4, s[sgprBeta]        // finalSum = sum*alpha + C*beta
v_and_b32 v4, v24, v7                              // convert bf16 to fp32
_v_mac_f32 v[vgprValuC+27], v4, s[sgprBeta]        // finalSum = sum*alpha + C*beta
v_cmp_u_f32 s[52:53], v[vgprValuC+26], v[vgprValuC+26] // check Nan
v_bfe_u32 v6, v[vgprValuC+26], 16, 1               // Non-Nan case: store lsb of bf16
v_add3_u32 v6, v[vgprValuC+26], v6, v9             // Non-Nan case: add lsb and the increment for rounding
v_cndmask_b32 v[vgprValuC+26], v6, v8, s[52:53]    // 
v_lshrrev_b32 v[vgprValuC+26], 16, v[vgprValuC+26] // convert C to bf16
v_cmp_u_f32 s[52:53], v[vgprValuC+27], v[vgprValuC+27] // check Nan
v_bfe_u32 v6, v[vgprValuC+27], 16, 1               // Non-Nan case: store lsb of bf16
v_add3_u32 v6, v[vgprValuC+27], v6, v9             // Non-Nan case: add lsb and the increment for rounding
v_cndmask_b32 v[vgprValuC+27], v6, v8, s[52:53]    // 
v_and_or_b32 v26, v[vgprValuC+27], v7, v[vgprValuC+26] // pack two bf16 to dword
	;; [unrolled: 17-line block ×4, first 2 shown]
s_lshl_b32  s52, s[sgprStrideD1J], 1               // incToNextRow: Scale by BPE
s_add_u32  s[sgprSrdD+0], s[sgprSrdD+0], s52       // incToNextRow: gra SRD += inc(lower)
s_addc_u32  s[sgprSrdD+1], s[sgprSrdD+1], 0        // incToNextRow: gra SRD += inc(upper)
_buffer_store_b32 v32, v10, s[sgprSrdD:sgprSrdD+3], 0, offen, offset:0,  sc0 sc1 // store D

s_waitcnt vmcnt(49)                                // wait C (interleaved) 49 = 50 - 7 + 7 - 1
v_lshlrev_b32 v4, 16, v31                          // convert bf16 to fp32
_v_mac_f32 v[vgprValuC+34], v4, s[sgprBeta]        // finalSum = sum*alpha + C*beta
v_and_b32 v4, v31, v7                              // convert bf16 to fp32
_v_mac_f32 v[vgprValuC+35], v4, s[sgprBeta]        // finalSum = sum*alpha + C*beta
v_cmp_u_f32 s[52:53], v[vgprValuC+34], v[vgprValuC+34] // check Nan
v_bfe_u32 v6, v[vgprValuC+34], 16, 1               // Non-Nan case: store lsb of bf16
v_add3_u32 v6, v[vgprValuC+34], v6, v9             // Non-Nan case: add lsb and the increment for rounding
v_cndmask_b32 v[vgprValuC+34], v6, v8, s[52:53]    // 
v_lshrrev_b32 v[vgprValuC+34], 16, v[vgprValuC+34] // convert C to bf16
v_cmp_u_f32 s[52:53], v[vgprValuC+35], v[vgprValuC+35] // check Nan
v_bfe_u32 v6, v[vgprValuC+35], 16, 1               // Non-Nan case: store lsb of bf16
v_add3_u32 v6, v[vgprValuC+35], v6, v9             // Non-Nan case: add lsb and the increment for rounding
v_cndmask_b32 v[vgprValuC+35], v6, v8, s[52:53]    // 
v_and_or_b32 v34, v[vgprValuC+35], v7, v[vgprValuC+34] // pack two bf16 to dword
_buffer_store_b32 v34, v10, s[sgprSrdD:sgprSrdD+3], 0, offen, offset:128,  sc0 sc1 // store D

s_waitcnt vmcnt(49)                                // wait C (interleaved) 49 = 50 - 8 + 8 - 1
v_lshlrev_b32 v4, 16, v36                          // convert bf16 to fp32
_v_mac_f32 v[vgprValuC+38], v4, s[sgprBeta]        // finalSum = sum*alpha + C*beta
v_and_b32 v4, v36, v7                              // convert bf16 to fp32
_v_mac_f32 v[vgprValuC+39], v4, s[sgprBeta]        // finalSum = sum*alpha + C*beta
v_cmp_u_f32 s[52:53], v[vgprValuC+38], v[vgprValuC+38] // check Nan
v_bfe_u32 v6, v[vgprValuC+38], 16, 1               // Non-Nan case: store lsb of bf16
v_add3_u32 v6, v[vgprValuC+38], v6, v9             // Non-Nan case: add lsb and the increment for rounding
v_cndmask_b32 v[vgprValuC+38], v6, v8, s[52:53]    // 
v_lshrrev_b32 v[vgprValuC+38], 16, v[vgprValuC+38] // convert C to bf16
v_cmp_u_f32 s[52:53], v[vgprValuC+39], v[vgprValuC+39] // check Nan
v_bfe_u32 v6, v[vgprValuC+39], 16, 1               // Non-Nan case: store lsb of bf16
v_add3_u32 v6, v[vgprValuC+39], v6, v9             // Non-Nan case: add lsb and the increment for rounding
v_cndmask_b32 v[vgprValuC+39], v6, v8, s[52:53]    // 
v_and_or_b32 v38, v[vgprValuC+39], v7, v[vgprValuC+38] // pack two bf16 to dword
	;; [unrolled: 17-line block ×4, first 2 shown]
s_lshl_b32  s52, s[sgprStrideD1J], 1               // incToNextRow: Scale by BPE
s_add_u32  s[sgprSrdD+0], s[sgprSrdD+0], s52       // incToNextRow: gra SRD += inc(lower)
s_addc_u32  s[sgprSrdD+1], s[sgprSrdD+1], 0        // incToNextRow: gra SRD += inc(upper)
_buffer_store_b32 v44, v10, s[sgprSrdD:sgprSrdD+3], 0, offen, offset:0,  sc0 sc1 // store D

s_waitcnt vmcnt(49)                                // wait C (interleaved) 49 = 50 - 11 + 11 - 1
v_lshlrev_b32 v4, 16, v43                          // convert bf16 to fp32
_v_mac_f32 v[vgprValuC+46], v4, s[sgprBeta]        // finalSum = sum*alpha + C*beta
v_and_b32 v4, v43, v7                              // convert bf16 to fp32
_v_mac_f32 v[vgprValuC+47], v4, s[sgprBeta]        // finalSum = sum*alpha + C*beta
v_cmp_u_f32 s[52:53], v[vgprValuC+46], v[vgprValuC+46] // check Nan
v_bfe_u32 v6, v[vgprValuC+46], 16, 1               // Non-Nan case: store lsb of bf16
v_add3_u32 v6, v[vgprValuC+46], v6, v9             // Non-Nan case: add lsb and the increment for rounding
v_cndmask_b32 v[vgprValuC+46], v6, v8, s[52:53]    // 
v_lshrrev_b32 v[vgprValuC+46], 16, v[vgprValuC+46] // convert C to bf16
v_cmp_u_f32 s[52:53], v[vgprValuC+47], v[vgprValuC+47] // check Nan
v_bfe_u32 v6, v[vgprValuC+47], 16, 1               // Non-Nan case: store lsb of bf16
v_add3_u32 v6, v[vgprValuC+47], v6, v9             // Non-Nan case: add lsb and the increment for rounding
v_cndmask_b32 v[vgprValuC+47], v6, v8, s[52:53]    // 
v_and_or_b32 v46, v[vgprValuC+47], v7, v[vgprValuC+46] // pack two bf16 to dword
_buffer_store_b32 v46, v10, s[sgprSrdD:sgprSrdD+3], 0, offen, offset:128,  sc0 sc1 // store D

s_waitcnt vmcnt(49)                                // wait C (interleaved) 49 = 50 - 12 + 12 - 1
v_lshlrev_b32 v4, 16, v48                          // convert bf16 to fp32
_v_mac_f32 v[vgprValuC+50], v4, s[sgprBeta]        // finalSum = sum*alpha + C*beta
v_and_b32 v4, v48, v7                              // convert bf16 to fp32
_v_mac_f32 v[vgprValuC+51], v4, s[sgprBeta]        // finalSum = sum*alpha + C*beta
v_cmp_u_f32 s[52:53], v[vgprValuC+50], v[vgprValuC+50] // check Nan
v_bfe_u32 v6, v[vgprValuC+50], 16, 1               // Non-Nan case: store lsb of bf16
v_add3_u32 v6, v[vgprValuC+50], v6, v9             // Non-Nan case: add lsb and the increment for rounding
v_cndmask_b32 v[vgprValuC+50], v6, v8, s[52:53]    // 
v_lshrrev_b32 v[vgprValuC+50], 16, v[vgprValuC+50] // convert C to bf16
v_cmp_u_f32 s[52:53], v[vgprValuC+51], v[vgprValuC+51] // check Nan
v_bfe_u32 v6, v[vgprValuC+51], 16, 1               // Non-Nan case: store lsb of bf16
v_add3_u32 v6, v[vgprValuC+51], v6, v9             // Non-Nan case: add lsb and the increment for rounding
v_cndmask_b32 v[vgprValuC+51], v6, v8, s[52:53]    // 
v_and_or_b32 v50, v[vgprValuC+51], v7, v[vgprValuC+50] // pack two bf16 to dword
	;; [unrolled: 17-line block ×4, first 2 shown]
s_lshl_b32  s52, s[sgprStrideD1J], 1               // incToNextRow: Scale by BPE
s_add_u32  s[sgprSrdD+0], s[sgprSrdD+0], s52       // incToNextRow: gra SRD += inc(lower)
s_addc_u32  s[sgprSrdD+1], s[sgprSrdD+1], 0        // incToNextRow: gra SRD += inc(upper)
_buffer_store_b32 v56, v10, s[sgprSrdD:sgprSrdD+3], 0, offen, offset:0,  sc0 sc1 // store D

s_waitcnt vmcnt(49)                                // wait C (interleaved) 49 = 50 - 15 + 15 - 1
v_lshlrev_b32 v4, 16, v55                          // convert bf16 to fp32
_v_mac_f32 v[vgprValuC+58], v4, s[sgprBeta]        // finalSum = sum*alpha + C*beta
v_and_b32 v4, v55, v7                              // convert bf16 to fp32
_v_mac_f32 v[vgprValuC+59], v4, s[sgprBeta]        // finalSum = sum*alpha + C*beta
v_cmp_u_f32 s[52:53], v[vgprValuC+58], v[vgprValuC+58] // check Nan
v_bfe_u32 v6, v[vgprValuC+58], 16, 1               // Non-Nan case: store lsb of bf16
v_add3_u32 v6, v[vgprValuC+58], v6, v9             // Non-Nan case: add lsb and the increment for rounding
v_cndmask_b32 v[vgprValuC+58], v6, v8, s[52:53]    // 
v_lshrrev_b32 v[vgprValuC+58], 16, v[vgprValuC+58] // convert C to bf16
v_cmp_u_f32 s[52:53], v[vgprValuC+59], v[vgprValuC+59] // check Nan
v_bfe_u32 v6, v[vgprValuC+59], 16, 1               // Non-Nan case: store lsb of bf16
v_add3_u32 v6, v[vgprValuC+59], v6, v9             // Non-Nan case: add lsb and the increment for rounding
v_cndmask_b32 v[vgprValuC+59], v6, v8, s[52:53]    // 
v_and_or_b32 v58, v[vgprValuC+59], v7, v[vgprValuC+58] // pack two bf16 to dword
_buffer_store_b32 v58, v10, s[sgprSrdD:sgprSrdD+3], 0, offen, offset:128,  sc0 sc1 // store D

s_waitcnt vmcnt(49)                                // wait C (interleaved) 49 = 50 - 16 + 16 - 1
v_lshlrev_b32 v4, 16, v60                          // convert bf16 to fp32
_v_mac_f32 v[vgprValuC+62], v4, s[sgprBeta]        // finalSum = sum*alpha + C*beta
v_and_b32 v4, v60, v7                              // convert bf16 to fp32
_v_mac_f32 v[vgprValuC+63], v4, s[sgprBeta]        // finalSum = sum*alpha + C*beta
v_cmp_u_f32 s[52:53], v[vgprValuC+62], v[vgprValuC+62] // check Nan
v_bfe_u32 v6, v[vgprValuC+62], 16, 1               // Non-Nan case: store lsb of bf16
v_add3_u32 v6, v[vgprValuC+62], v6, v9             // Non-Nan case: add lsb and the increment for rounding
v_cndmask_b32 v[vgprValuC+62], v6, v8, s[52:53]    // 
v_lshrrev_b32 v[vgprValuC+62], 16, v[vgprValuC+62] // convert C to bf16
v_cmp_u_f32 s[52:53], v[vgprValuC+63], v[vgprValuC+63] // check Nan
v_bfe_u32 v6, v[vgprValuC+63], 16, 1               // Non-Nan case: store lsb of bf16
v_add3_u32 v6, v[vgprValuC+63], v6, v9             // Non-Nan case: add lsb and the increment for rounding
v_cndmask_b32 v[vgprValuC+63], v6, v8, s[52:53]    // 
v_and_or_b32 v62, v[vgprValuC+63], v7, v[vgprValuC+62] // pack two bf16 to dword
	;; [unrolled: 17-line block ×4, first 2 shown]
s_mul_i32 s52, s[sgprStrideD1J], 58                // scale StrideD *= numRows(29) * bpe
s_add_u32  s[sgprSrdD+0], s[sgprSrdD+0], s52       // incToNextRow: gra SRD += inc(lower)
s_addc_u32  s[sgprSrdD+1], s[sgprSrdD+1], 0        // incToNextRow: gra SRD += inc(upper)
_buffer_store_b32 v68, v10, s[sgprSrdD:sgprSrdD+3], 0, offen, offset:0,  sc0 sc1 // store D

s_waitcnt vmcnt(49)                                // wait C (interleaved) 49 = 50 - 19 + 19 - 1
v_lshlrev_b32 v4, 16, v67                          // convert bf16 to fp32
_v_mac_f32 v[vgprValuC+70], v4, s[sgprBeta]        // finalSum = sum*alpha + C*beta
v_and_b32 v4, v67, v7                              // convert bf16 to fp32
_v_mac_f32 v[vgprValuC+71], v4, s[sgprBeta]        // finalSum = sum*alpha + C*beta
v_cmp_u_f32 s[52:53], v[vgprValuC+70], v[vgprValuC+70] // check Nan
v_bfe_u32 v6, v[vgprValuC+70], 16, 1               // Non-Nan case: store lsb of bf16
v_add3_u32 v6, v[vgprValuC+70], v6, v9             // Non-Nan case: add lsb and the increment for rounding
v_cndmask_b32 v[vgprValuC+70], v6, v8, s[52:53]    // 
v_lshrrev_b32 v[vgprValuC+70], 16, v[vgprValuC+70] // convert C to bf16
v_cmp_u_f32 s[52:53], v[vgprValuC+71], v[vgprValuC+71] // check Nan
v_bfe_u32 v6, v[vgprValuC+71], 16, 1               // Non-Nan case: store lsb of bf16
v_add3_u32 v6, v[vgprValuC+71], v6, v9             // Non-Nan case: add lsb and the increment for rounding
v_cndmask_b32 v[vgprValuC+71], v6, v8, s[52:53]    // 
v_and_or_b32 v70, v[vgprValuC+71], v7, v[vgprValuC+70] // pack two bf16 to dword
_buffer_store_b32 v70, v10, s[sgprSrdD:sgprSrdD+3], 0, offen, offset:128,  sc0 sc1 // store D

s_waitcnt vmcnt(49)                                // wait C (interleaved) 49 = 50 - 20 + 20 - 1
v_lshlrev_b32 v4, 16, v72                          // convert bf16 to fp32
_v_mac_f32 v[vgprValuC+74], v4, s[sgprBeta]        // finalSum = sum*alpha + C*beta
v_and_b32 v4, v72, v7                              // convert bf16 to fp32
_v_mac_f32 v[vgprValuC+75], v4, s[sgprBeta]        // finalSum = sum*alpha + C*beta
v_cmp_u_f32 s[52:53], v[vgprValuC+74], v[vgprValuC+74] // check Nan
v_bfe_u32 v6, v[vgprValuC+74], 16, 1               // Non-Nan case: store lsb of bf16
v_add3_u32 v6, v[vgprValuC+74], v6, v9             // Non-Nan case: add lsb and the increment for rounding
v_cndmask_b32 v[vgprValuC+74], v6, v8, s[52:53]    // 
v_lshrrev_b32 v[vgprValuC+74], 16, v[vgprValuC+74] // convert C to bf16
v_cmp_u_f32 s[52:53], v[vgprValuC+75], v[vgprValuC+75] // check Nan
v_bfe_u32 v6, v[vgprValuC+75], 16, 1               // Non-Nan case: store lsb of bf16
v_add3_u32 v6, v[vgprValuC+75], v6, v9             // Non-Nan case: add lsb and the increment for rounding
v_cndmask_b32 v[vgprValuC+75], v6, v8, s[52:53]    // 
v_and_or_b32 v74, v[vgprValuC+75], v7, v[vgprValuC+74] // pack two bf16 to dword
	;; [unrolled: 17-line block ×4, first 2 shown]
s_lshl_b32  s52, s[sgprStrideD1J], 1               // incToNextRow: Scale by BPE
s_add_u32  s[sgprSrdD+0], s[sgprSrdD+0], s52       // incToNextRow: gra SRD += inc(lower)
s_addc_u32  s[sgprSrdD+1], s[sgprSrdD+1], 0        // incToNextRow: gra SRD += inc(upper)
_buffer_store_b32 v80, v10, s[sgprSrdD:sgprSrdD+3], 0, offen, offset:0,  sc0 sc1 // store D

s_waitcnt vmcnt(49)                                // wait C (interleaved) 49 = 50 - 23 + 23 - 1
v_lshlrev_b32 v4, 16, v79                          // convert bf16 to fp32
_v_mac_f32 v[vgprValuC+82], v4, s[sgprBeta]        // finalSum = sum*alpha + C*beta
v_and_b32 v4, v79, v7                              // convert bf16 to fp32
_v_mac_f32 v[vgprValuC+83], v4, s[sgprBeta]        // finalSum = sum*alpha + C*beta
v_cmp_u_f32 s[52:53], v[vgprValuC+82], v[vgprValuC+82] // check Nan
v_bfe_u32 v6, v[vgprValuC+82], 16, 1               // Non-Nan case: store lsb of bf16
v_add3_u32 v6, v[vgprValuC+82], v6, v9             // Non-Nan case: add lsb and the increment for rounding
v_cndmask_b32 v[vgprValuC+82], v6, v8, s[52:53]    // 
v_lshrrev_b32 v[vgprValuC+82], 16, v[vgprValuC+82] // convert C to bf16
v_cmp_u_f32 s[52:53], v[vgprValuC+83], v[vgprValuC+83] // check Nan
v_bfe_u32 v6, v[vgprValuC+83], 16, 1               // Non-Nan case: store lsb of bf16
v_add3_u32 v6, v[vgprValuC+83], v6, v9             // Non-Nan case: add lsb and the increment for rounding
v_cndmask_b32 v[vgprValuC+83], v6, v8, s[52:53]    // 
v_and_or_b32 v82, v[vgprValuC+83], v7, v[vgprValuC+82] // pack two bf16 to dword
_buffer_store_b32 v82, v10, s[sgprSrdD:sgprSrdD+3], 0, offen, offset:128,  sc0 sc1 // store D

s_waitcnt vmcnt(49)                                // wait C (interleaved) 49 = 50 - 24 + 24 - 1
v_lshlrev_b32 v4, 16, v84                          // convert bf16 to fp32
_v_mac_f32 v[vgprValuC+86], v4, s[sgprBeta]        // finalSum = sum*alpha + C*beta
v_and_b32 v4, v84, v7                              // convert bf16 to fp32
_v_mac_f32 v[vgprValuC+87], v4, s[sgprBeta]        // finalSum = sum*alpha + C*beta
v_cmp_u_f32 s[52:53], v[vgprValuC+86], v[vgprValuC+86] // check Nan
v_bfe_u32 v6, v[vgprValuC+86], 16, 1               // Non-Nan case: store lsb of bf16
v_add3_u32 v6, v[vgprValuC+86], v6, v9             // Non-Nan case: add lsb and the increment for rounding
v_cndmask_b32 v[vgprValuC+86], v6, v8, s[52:53]    // 
v_lshrrev_b32 v[vgprValuC+86], 16, v[vgprValuC+86] // convert C to bf16
v_cmp_u_f32 s[52:53], v[vgprValuC+87], v[vgprValuC+87] // check Nan
v_bfe_u32 v6, v[vgprValuC+87], 16, 1               // Non-Nan case: store lsb of bf16
v_add3_u32 v6, v[vgprValuC+87], v6, v9             // Non-Nan case: add lsb and the increment for rounding
v_cndmask_b32 v[vgprValuC+87], v6, v8, s[52:53]    // 
v_and_or_b32 v86, v[vgprValuC+87], v7, v[vgprValuC+86] // pack two bf16 to dword
	;; [unrolled: 17-line block ×4, first 2 shown]
s_lshl_b32  s52, s[sgprStrideD1J], 1               // incToNextRow: Scale by BPE
s_add_u32  s[sgprSrdD+0], s[sgprSrdD+0], s52       // incToNextRow: gra SRD += inc(lower)
s_addc_u32  s[sgprSrdD+1], s[sgprSrdD+1], 0        // incToNextRow: gra SRD += inc(upper)
_buffer_store_b32 v92, v10, s[sgprSrdD:sgprSrdD+3], 0, offen, offset:0,  sc0 sc1 // store D

s_waitcnt vmcnt(49)                                // wait C (interleaved) 49 = 50 - 27 + 27 - 1
v_lshlrev_b32 v4, 16, v91                          // convert bf16 to fp32
_v_mac_f32 v[vgprValuC+94], v4, s[sgprBeta]        // finalSum = sum*alpha + C*beta
v_and_b32 v4, v91, v7                              // convert bf16 to fp32
_v_mac_f32 v[vgprValuC+95], v4, s[sgprBeta]        // finalSum = sum*alpha + C*beta
v_cmp_u_f32 s[52:53], v[vgprValuC+94], v[vgprValuC+94] // check Nan
v_bfe_u32 v6, v[vgprValuC+94], 16, 1               // Non-Nan case: store lsb of bf16
v_add3_u32 v6, v[vgprValuC+94], v6, v9             // Non-Nan case: add lsb and the increment for rounding
v_cndmask_b32 v[vgprValuC+94], v6, v8, s[52:53]    // 
v_lshrrev_b32 v[vgprValuC+94], 16, v[vgprValuC+94] // convert C to bf16
v_cmp_u_f32 s[52:53], v[vgprValuC+95], v[vgprValuC+95] // check Nan
v_bfe_u32 v6, v[vgprValuC+95], 16, 1               // Non-Nan case: store lsb of bf16
v_add3_u32 v6, v[vgprValuC+95], v6, v9             // Non-Nan case: add lsb and the increment for rounding
v_cndmask_b32 v[vgprValuC+95], v6, v8, s[52:53]    // 
v_and_or_b32 v94, v[vgprValuC+95], v7, v[vgprValuC+94] // pack two bf16 to dword
_buffer_store_b32 v94, v10, s[sgprSrdD:sgprSrdD+3], 0, offen, offset:128,  sc0 sc1 // store D

s_waitcnt vmcnt(49)                                // wait C (interleaved) 49 = 50 - 28 + 28 - 1
v_lshlrev_b32 v4, 16, v96                          // convert bf16 to fp32
_v_mac_f32 v[vgprValuC+98], v4, s[sgprBeta]        // finalSum = sum*alpha + C*beta
v_and_b32 v4, v96, v7                              // convert bf16 to fp32
_v_mac_f32 v[vgprValuC+99], v4, s[sgprBeta]        // finalSum = sum*alpha + C*beta
v_cmp_u_f32 s[52:53], v[vgprValuC+98], v[vgprValuC+98] // check Nan
v_bfe_u32 v6, v[vgprValuC+98], 16, 1               // Non-Nan case: store lsb of bf16
v_add3_u32 v6, v[vgprValuC+98], v6, v9             // Non-Nan case: add lsb and the increment for rounding
v_cndmask_b32 v[vgprValuC+98], v6, v8, s[52:53]    // 
v_lshrrev_b32 v[vgprValuC+98], 16, v[vgprValuC+98] // convert C to bf16
v_cmp_u_f32 s[52:53], v[vgprValuC+99], v[vgprValuC+99] // check Nan
v_bfe_u32 v6, v[vgprValuC+99], 16, 1               // Non-Nan case: store lsb of bf16
v_add3_u32 v6, v[vgprValuC+99], v6, v9             // Non-Nan case: add lsb and the increment for rounding
v_cndmask_b32 v[vgprValuC+99], v6, v8, s[52:53]    // 
v_and_or_b32 v98, v[vgprValuC+99], v7, v[vgprValuC+98] // pack two bf16 to dword
_buffer_store_b32 v98, v10, s[sgprSrdD:sgprSrdD+3], 0, offen, offset:256,  sc0 sc1 // store D

s_waitcnt vmcnt(49)                                // wait C (interleaved) 49 = 50 - 29 + 29 - 1
v_lshlrev_b32 v4, 16, v97                          // convert bf16 to fp32
_v_mac_f32 v[vgprValuC+100], v4, s[sgprBeta]       // finalSum = sum*alpha + C*beta
v_and_b32 v4, v97, v7                              // convert bf16 to fp32
_v_mac_f32 v[vgprValuC+101], v4, s[sgprBeta]       // finalSum = sum*alpha + C*beta
v_cmp_u_f32 s[52:53], v[vgprValuC+100], v[vgprValuC+100] // check Nan
v_bfe_u32 v6, v[vgprValuC+100], 16, 1              // Non-Nan case: store lsb of bf16
v_add3_u32 v6, v[vgprValuC+100], v6, v9            // Non-Nan case: add lsb and the increment for rounding
v_cndmask_b32 v[vgprValuC+100], v6, v8, s[52:53]   // 
v_lshrrev_b32 v[vgprValuC+100], 16, v[vgprValuC+100] // convert C to bf16
v_cmp_u_f32 s[52:53], v[vgprValuC+101], v[vgprValuC+101] // check Nan
v_bfe_u32 v6, v[vgprValuC+101], 16, 1              // Non-Nan case: store lsb of bf16
v_add3_u32 v6, v[vgprValuC+101], v6, v9            // Non-Nan case: add lsb and the increment for rounding
v_cndmask_b32 v[vgprValuC+101], v6, v8, s[52:53]   // 
v_and_or_b32 v100, v[vgprValuC+101], v7, v[vgprValuC+100] // pack two bf16 to dword
_buffer_store_b32 v100, v10, s[sgprSrdD:sgprSrdD+3], 0, offen, offset:384,  sc0 sc1 // store D

s_waitcnt vmcnt(49)                                // wait C (interleaved) 49 = 50 - 30 + 30 - 1
v_lshlrev_b32 v4, 16, v102                         // convert bf16 to fp32
_v_mac_f32 v[vgprValuC+104], v4, s[sgprBeta]       // finalSum = sum*alpha + C*beta
v_and_b32 v4, v102, v7                             // convert bf16 to fp32
_v_mac_f32 v[vgprValuC+105], v4, s[sgprBeta]       // finalSum = sum*alpha + C*beta
v_cmp_u_f32 s[52:53], v[vgprValuC+104], v[vgprValuC+104] // check Nan
v_bfe_u32 v6, v[vgprValuC+104], 16, 1              // Non-Nan case: store lsb of bf16
v_add3_u32 v6, v[vgprValuC+104], v6, v9            // Non-Nan case: add lsb and the increment for rounding
v_cndmask_b32 v[vgprValuC+104], v6, v8, s[52:53]   // 
v_lshrrev_b32 v[vgprValuC+104], 16, v[vgprValuC+104] // convert C to bf16
v_cmp_u_f32 s[52:53], v[vgprValuC+105], v[vgprValuC+105] // check Nan
v_bfe_u32 v6, v[vgprValuC+105], 16, 1              // Non-Nan case: store lsb of bf16
v_add3_u32 v6, v[vgprValuC+105], v6, v9            // Non-Nan case: add lsb and the increment for rounding
v_cndmask_b32 v[vgprValuC+105], v6, v8, s[52:53]   // 
v_and_or_b32 v104, v[vgprValuC+105], v7, v[vgprValuC+104] // pack two bf16 to dword
s_lshl_b32  s52, s[sgprStrideD1J], 1               // incToNextRow: Scale by BPE
s_add_u32  s[sgprSrdD+0], s[sgprSrdD+0], s52       // incToNextRow: gra SRD += inc(lower)
s_addc_u32  s[sgprSrdD+1], s[sgprSrdD+1], 0        // incToNextRow: gra SRD += inc(upper)
_buffer_store_b32 v104, v10, s[sgprSrdD:sgprSrdD+3], 0, offen, offset:0,  sc0 sc1 // store D

s_waitcnt vmcnt(49)                                // wait C (interleaved) 49 = 50 - 31 + 31 - 1
v_lshlrev_b32 v4, 16, v103                         // convert bf16 to fp32
_v_mac_f32 v[vgprValuC+106], v4, s[sgprBeta]       // finalSum = sum*alpha + C*beta
v_and_b32 v4, v103, v7                             // convert bf16 to fp32
_v_mac_f32 v[vgprValuC+107], v4, s[sgprBeta]       // finalSum = sum*alpha + C*beta
v_cmp_u_f32 s[52:53], v[vgprValuC+106], v[vgprValuC+106] // check Nan
v_bfe_u32 v6, v[vgprValuC+106], 16, 1              // Non-Nan case: store lsb of bf16
v_add3_u32 v6, v[vgprValuC+106], v6, v9            // Non-Nan case: add lsb and the increment for rounding
v_cndmask_b32 v[vgprValuC+106], v6, v8, s[52:53]   // 
v_lshrrev_b32 v[vgprValuC+106], 16, v[vgprValuC+106] // convert C to bf16
v_cmp_u_f32 s[52:53], v[vgprValuC+107], v[vgprValuC+107] // check Nan
v_bfe_u32 v6, v[vgprValuC+107], 16, 1              // Non-Nan case: store lsb of bf16
v_add3_u32 v6, v[vgprValuC+107], v6, v9            // Non-Nan case: add lsb and the increment for rounding
v_cndmask_b32 v[vgprValuC+107], v6, v8, s[52:53]   // 
v_and_or_b32 v106, v[vgprValuC+107], v7, v[vgprValuC+106] // pack two bf16 to dword
_buffer_store_b32 v106, v10, s[sgprSrdD:sgprSrdD+3], 0, offen, offset:128,  sc0 sc1 // store D

s_waitcnt vmcnt(49)                                // wait C (interleaved) 49 = 50 - 32 + 32 - 1
v_lshlrev_b32 v4, 16, v108                         // convert bf16 to fp32
_v_mac_f32 v[vgprValuC+110], v4, s[sgprBeta]       // finalSum = sum*alpha + C*beta
v_and_b32 v4, v108, v7                             // convert bf16 to fp32
_v_mac_f32 v[vgprValuC+111], v4, s[sgprBeta]       // finalSum = sum*alpha + C*beta
v_cmp_u_f32 s[52:53], v[vgprValuC+110], v[vgprValuC+110] // check Nan
v_bfe_u32 v6, v[vgprValuC+110], 16, 1              // Non-Nan case: store lsb of bf16
v_add3_u32 v6, v[vgprValuC+110], v6, v9            // Non-Nan case: add lsb and the increment for rounding
v_cndmask_b32 v[vgprValuC+110], v6, v8, s[52:53]   // 
v_lshrrev_b32 v[vgprValuC+110], 16, v[vgprValuC+110] // convert C to bf16
v_cmp_u_f32 s[52:53], v[vgprValuC+111], v[vgprValuC+111] // check Nan
v_bfe_u32 v6, v[vgprValuC+111], 16, 1              // Non-Nan case: store lsb of bf16
v_add3_u32 v6, v[vgprValuC+111], v6, v9            // Non-Nan case: add lsb and the increment for rounding
v_cndmask_b32 v[vgprValuC+111], v6, v8, s[52:53]   // 
v_and_or_b32 v110, v[vgprValuC+111], v7, v[vgprValuC+110] // pack two bf16 to dword
	;; [unrolled: 17-line block ×4, first 2 shown]
s_mul_i32 s52, s[sgprStrideD1J], 58                // scale StrideD *= numRows(29) * bpe
s_add_u32  s[sgprSrdD+0], s[sgprSrdD+0], s52       // incToNextRow: gra SRD += inc(lower)
s_addc_u32  s[sgprSrdD+1], s[sgprSrdD+1], 0        // incToNextRow: gra SRD += inc(upper)
_buffer_store_b32 v116, v10, s[sgprSrdD:sgprSrdD+3], 0, offen, offset:0,  sc0 sc1 // store D

s_waitcnt vmcnt(49)                                // wait C (interleaved) 49 = 50 - 35 + 35 - 1
v_lshlrev_b32 v4, 16, v115                         // convert bf16 to fp32
_v_mac_f32 v[vgprValuC+118], v4, s[sgprBeta]       // finalSum = sum*alpha + C*beta
v_and_b32 v4, v115, v7                             // convert bf16 to fp32
_v_mac_f32 v[vgprValuC+119], v4, s[sgprBeta]       // finalSum = sum*alpha + C*beta
v_cmp_u_f32 s[52:53], v[vgprValuC+118], v[vgprValuC+118] // check Nan
v_bfe_u32 v6, v[vgprValuC+118], 16, 1              // Non-Nan case: store lsb of bf16
v_add3_u32 v6, v[vgprValuC+118], v6, v9            // Non-Nan case: add lsb and the increment for rounding
v_cndmask_b32 v[vgprValuC+118], v6, v8, s[52:53]   // 
v_lshrrev_b32 v[vgprValuC+118], 16, v[vgprValuC+118] // convert C to bf16
v_cmp_u_f32 s[52:53], v[vgprValuC+119], v[vgprValuC+119] // check Nan
v_bfe_u32 v6, v[vgprValuC+119], 16, 1              // Non-Nan case: store lsb of bf16
v_add3_u32 v6, v[vgprValuC+119], v6, v9            // Non-Nan case: add lsb and the increment for rounding
v_cndmask_b32 v[vgprValuC+119], v6, v8, s[52:53]   // 
v_and_or_b32 v118, v[vgprValuC+119], v7, v[vgprValuC+118] // pack two bf16 to dword
_buffer_store_b32 v118, v10, s[sgprSrdD:sgprSrdD+3], 0, offen, offset:128,  sc0 sc1 // store D

s_waitcnt vmcnt(49)                                // wait C (interleaved) 49 = 50 - 36 + 36 - 1
v_lshlrev_b32 v4, 16, v120                         // convert bf16 to fp32
_v_mac_f32 v[vgprValuC+122], v4, s[sgprBeta]       // finalSum = sum*alpha + C*beta
v_and_b32 v4, v120, v7                             // convert bf16 to fp32
_v_mac_f32 v[vgprValuC+123], v4, s[sgprBeta]       // finalSum = sum*alpha + C*beta
v_cmp_u_f32 s[52:53], v[vgprValuC+122], v[vgprValuC+122] // check Nan
v_bfe_u32 v6, v[vgprValuC+122], 16, 1              // Non-Nan case: store lsb of bf16
v_add3_u32 v6, v[vgprValuC+122], v6, v9            // Non-Nan case: add lsb and the increment for rounding
v_cndmask_b32 v[vgprValuC+122], v6, v8, s[52:53]   // 
v_lshrrev_b32 v[vgprValuC+122], 16, v[vgprValuC+122] // convert C to bf16
v_cmp_u_f32 s[52:53], v[vgprValuC+123], v[vgprValuC+123] // check Nan
v_bfe_u32 v6, v[vgprValuC+123], 16, 1              // Non-Nan case: store lsb of bf16
v_add3_u32 v6, v[vgprValuC+123], v6, v9            // Non-Nan case: add lsb and the increment for rounding
v_cndmask_b32 v[vgprValuC+123], v6, v8, s[52:53]   // 
v_and_or_b32 v122, v[vgprValuC+123], v7, v[vgprValuC+122] // pack two bf16 to dword
	;; [unrolled: 17-line block ×4, first 2 shown]
s_lshl_b32  s52, s[sgprStrideD1J], 1               // incToNextRow: Scale by BPE
s_add_u32  s[sgprSrdD+0], s[sgprSrdD+0], s52       // incToNextRow: gra SRD += inc(lower)
s_addc_u32  s[sgprSrdD+1], s[sgprSrdD+1], 0        // incToNextRow: gra SRD += inc(upper)
_buffer_store_b32 v128, v10, s[sgprSrdD:sgprSrdD+3], 0, offen, offset:0,  sc0 sc1 // store D

s_waitcnt vmcnt(49)                                // wait C (interleaved) 49 = 50 - 39 + 39 - 1
v_lshlrev_b32 v4, 16, v127                         // convert bf16 to fp32
_v_mac_f32 v[vgprValuC+130], v4, s[sgprBeta]       // finalSum = sum*alpha + C*beta
v_and_b32 v4, v127, v7                             // convert bf16 to fp32
_v_mac_f32 v[vgprValuC+131], v4, s[sgprBeta]       // finalSum = sum*alpha + C*beta
v_cmp_u_f32 s[52:53], v[vgprValuC+130], v[vgprValuC+130] // check Nan
v_bfe_u32 v6, v[vgprValuC+130], 16, 1              // Non-Nan case: store lsb of bf16
v_add3_u32 v6, v[vgprValuC+130], v6, v9            // Non-Nan case: add lsb and the increment for rounding
v_cndmask_b32 v[vgprValuC+130], v6, v8, s[52:53]   // 
v_lshrrev_b32 v[vgprValuC+130], 16, v[vgprValuC+130] // convert C to bf16
v_cmp_u_f32 s[52:53], v[vgprValuC+131], v[vgprValuC+131] // check Nan
v_bfe_u32 v6, v[vgprValuC+131], 16, 1              // Non-Nan case: store lsb of bf16
v_add3_u32 v6, v[vgprValuC+131], v6, v9            // Non-Nan case: add lsb and the increment for rounding
v_cndmask_b32 v[vgprValuC+131], v6, v8, s[52:53]   // 
v_and_or_b32 v130, v[vgprValuC+131], v7, v[vgprValuC+130] // pack two bf16 to dword
_buffer_store_b32 v130, v10, s[sgprSrdD:sgprSrdD+3], 0, offen, offset:128,  sc0 sc1 // store D

s_waitcnt vmcnt(49)                                // wait C (interleaved) 49 = 50 - 40 + 40 - 1
v_lshlrev_b32 v4, 16, v132                         // convert bf16 to fp32
_v_mac_f32 v[vgprValuC+134], v4, s[sgprBeta]       // finalSum = sum*alpha + C*beta
v_and_b32 v4, v132, v7                             // convert bf16 to fp32
_v_mac_f32 v[vgprValuC+135], v4, s[sgprBeta]       // finalSum = sum*alpha + C*beta
v_cmp_u_f32 s[52:53], v[vgprValuC+134], v[vgprValuC+134] // check Nan
v_bfe_u32 v6, v[vgprValuC+134], 16, 1              // Non-Nan case: store lsb of bf16
v_add3_u32 v6, v[vgprValuC+134], v6, v9            // Non-Nan case: add lsb and the increment for rounding
v_cndmask_b32 v[vgprValuC+134], v6, v8, s[52:53]   // 
v_lshrrev_b32 v[vgprValuC+134], 16, v[vgprValuC+134] // convert C to bf16
v_cmp_u_f32 s[52:53], v[vgprValuC+135], v[vgprValuC+135] // check Nan
v_bfe_u32 v6, v[vgprValuC+135], 16, 1              // Non-Nan case: store lsb of bf16
v_add3_u32 v6, v[vgprValuC+135], v6, v9            // Non-Nan case: add lsb and the increment for rounding
v_cndmask_b32 v[vgprValuC+135], v6, v8, s[52:53]   // 
v_and_or_b32 v134, v[vgprValuC+135], v7, v[vgprValuC+134] // pack two bf16 to dword
	;; [unrolled: 17-line block ×4, first 2 shown]
s_lshl_b32  s52, s[sgprStrideD1J], 1               // incToNextRow: Scale by BPE
s_add_u32  s[sgprSrdD+0], s[sgprSrdD+0], s52       // incToNextRow: gra SRD += inc(lower)
s_addc_u32  s[sgprSrdD+1], s[sgprSrdD+1], 0        // incToNextRow: gra SRD += inc(upper)
_buffer_store_b32 v140, v10, s[sgprSrdD:sgprSrdD+3], 0, offen, offset:0,  sc0 sc1 // store D

s_waitcnt vmcnt(49)                                // wait C (interleaved) 49 = 50 - 43 + 43 - 1
v_lshlrev_b32 v4, 16, v139                         // convert bf16 to fp32
_v_mac_f32 v[vgprValuC+142], v4, s[sgprBeta]       // finalSum = sum*alpha + C*beta
v_and_b32 v4, v139, v7                             // convert bf16 to fp32
_v_mac_f32 v[vgprValuC+143], v4, s[sgprBeta]       // finalSum = sum*alpha + C*beta
v_cmp_u_f32 s[52:53], v[vgprValuC+142], v[vgprValuC+142] // check Nan
v_bfe_u32 v6, v[vgprValuC+142], 16, 1              // Non-Nan case: store lsb of bf16
v_add3_u32 v6, v[vgprValuC+142], v6, v9            // Non-Nan case: add lsb and the increment for rounding
v_cndmask_b32 v[vgprValuC+142], v6, v8, s[52:53]   // 
v_lshrrev_b32 v[vgprValuC+142], 16, v[vgprValuC+142] // convert C to bf16
v_cmp_u_f32 s[52:53], v[vgprValuC+143], v[vgprValuC+143] // check Nan
v_bfe_u32 v6, v[vgprValuC+143], 16, 1              // Non-Nan case: store lsb of bf16
v_add3_u32 v6, v[vgprValuC+143], v6, v9            // Non-Nan case: add lsb and the increment for rounding
v_cndmask_b32 v[vgprValuC+143], v6, v8, s[52:53]   // 
v_and_or_b32 v142, v[vgprValuC+143], v7, v[vgprValuC+142] // pack two bf16 to dword
_buffer_store_b32 v142, v10, s[sgprSrdD:sgprSrdD+3], 0, offen, offset:128,  sc0 sc1 // store D

s_waitcnt vmcnt(49)                                // wait C (interleaved) 49 = 50 - 44 + 44 - 1
v_lshlrev_b32 v4, 16, v144                         // convert bf16 to fp32
_v_mac_f32 v[vgprValuC+146], v4, s[sgprBeta]       // finalSum = sum*alpha + C*beta
v_and_b32 v4, v144, v7                             // convert bf16 to fp32
_v_mac_f32 v[vgprValuC+147], v4, s[sgprBeta]       // finalSum = sum*alpha + C*beta
v_cmp_u_f32 s[52:53], v[vgprValuC+146], v[vgprValuC+146] // check Nan
v_bfe_u32 v6, v[vgprValuC+146], 16, 1              // Non-Nan case: store lsb of bf16
v_add3_u32 v6, v[vgprValuC+146], v6, v9            // Non-Nan case: add lsb and the increment for rounding
v_cndmask_b32 v[vgprValuC+146], v6, v8, s[52:53]   // 
v_lshrrev_b32 v[vgprValuC+146], 16, v[vgprValuC+146] // convert C to bf16
v_cmp_u_f32 s[52:53], v[vgprValuC+147], v[vgprValuC+147] // check Nan
v_bfe_u32 v6, v[vgprValuC+147], 16, 1              // Non-Nan case: store lsb of bf16
v_add3_u32 v6, v[vgprValuC+147], v6, v9            // Non-Nan case: add lsb and the increment for rounding
v_cndmask_b32 v[vgprValuC+147], v6, v8, s[52:53]   // 
v_and_or_b32 v146, v[vgprValuC+147], v7, v[vgprValuC+146] // pack two bf16 to dword
	;; [unrolled: 17-line block ×4, first 2 shown]
s_lshl_b32  s52, s[sgprStrideD1J], 1               // incToNextRow: Scale by BPE
s_add_u32  s[sgprSrdD+0], s[sgprSrdD+0], s52       // incToNextRow: gra SRD += inc(lower)
s_addc_u32  s[sgprSrdD+1], s[sgprSrdD+1], 0        // incToNextRow: gra SRD += inc(upper)
_buffer_store_b32 v154, v10, s[sgprSrdD:sgprSrdD+3], 0, offen, offset:0,  sc0 sc1 // store D

s_waitcnt vmcnt(49)                                // wait C (interleaved) 49 = 50 - 47 + 47 - 1
v_lshlrev_b32 v4, 16, v156                         // convert bf16 to fp32
_v_mac_f32 v[vgprValuC+158], v4, s[sgprBeta]       // finalSum = sum*alpha + C*beta
v_and_b32 v4, v156, v7                             // convert bf16 to fp32
_v_mac_f32 v[vgprValuC+159], v4, s[sgprBeta]       // finalSum = sum*alpha + C*beta
v_cmp_u_f32 s[52:53], v[vgprValuC+158], v[vgprValuC+158] // check Nan
v_bfe_u32 v6, v[vgprValuC+158], 16, 1              // Non-Nan case: store lsb of bf16
v_add3_u32 v6, v[vgprValuC+158], v6, v9            // Non-Nan case: add lsb and the increment for rounding
v_cndmask_b32 v[vgprValuC+158], v6, v8, s[52:53]   // 
v_lshrrev_b32 v[vgprValuC+158], 16, v[vgprValuC+158] // convert C to bf16
v_cmp_u_f32 s[52:53], v[vgprValuC+159], v[vgprValuC+159] // check Nan
v_bfe_u32 v6, v[vgprValuC+159], 16, 1              // Non-Nan case: store lsb of bf16
v_add3_u32 v6, v[vgprValuC+159], v6, v9            // Non-Nan case: add lsb and the increment for rounding
v_cndmask_b32 v[vgprValuC+159], v6, v8, s[52:53]   // 
v_and_or_b32 v158, v[vgprValuC+159], v7, v[vgprValuC+158] // pack two bf16 to dword
_buffer_store_b32 v158, v10, s[sgprSrdD:sgprSrdD+3], 0, offen, offset:128,  sc0 sc1 // store D

s_waitcnt vmcnt(49)                                // wait C (interleaved) 49 = 50 - 48 + 48 - 1
v_lshlrev_b32 v4, 16, v157                         // convert bf16 to fp32
_v_mac_f32 v[vgprValuC+160], v4, s[sgprBeta]       // finalSum = sum*alpha + C*beta
v_and_b32 v4, v157, v7                             // convert bf16 to fp32
_v_mac_f32 v[vgprValuC+161], v4, s[sgprBeta]       // finalSum = sum*alpha + C*beta
v_cmp_u_f32 s[52:53], v[vgprValuC+160], v[vgprValuC+160] // check Nan
v_bfe_u32 v6, v[vgprValuC+160], 16, 1              // Non-Nan case: store lsb of bf16
v_add3_u32 v6, v[vgprValuC+160], v6, v9            // Non-Nan case: add lsb and the increment for rounding
v_cndmask_b32 v[vgprValuC+160], v6, v8, s[52:53]   // 
v_lshrrev_b32 v[vgprValuC+160], 16, v[vgprValuC+160] // convert C to bf16
v_cmp_u_f32 s[52:53], v[vgprValuC+161], v[vgprValuC+161] // check Nan
v_bfe_u32 v6, v[vgprValuC+161], 16, 1              // Non-Nan case: store lsb of bf16
v_add3_u32 v6, v[vgprValuC+161], v6, v9            // Non-Nan case: add lsb and the increment for rounding
v_cndmask_b32 v[vgprValuC+161], v6, v8, s[52:53]   // 
v_and_or_b32 v160, v[vgprValuC+161], v7, v[vgprValuC+160] // pack two bf16 to dword
	;; [unrolled: 17-line block ×3, first 2 shown]
_buffer_store_b32 v164, v10, s[sgprSrdD:sgprSrdD+3], 0, offen, offset:384,  sc0 sc1 // store D
s_nop 0                                            // 1 wait state required when next inst writes vgprs held by previous dwordx4 store inst
s_branch label_GW_End_42                           // jump to end
GW_B1_E1_41:

/* edge=1, allocate 6 sgpr. perBatchTmpS=4 perBatchMaskS=2 perElementMaskS=0 elementsPerBatch=60 */
/* optSingleColVgpr=0 optSharedColVgpr=0 optSGPRUsage=BufferLoad_Edge_Mask optSrdIncForRow=0 */

/******************************************/
/* Global Write Alpha Beta Edge Batch #0 (d1,d0,vc1,vc0) = */
/*    (0,0,0,0:vw2); (0,1,0,0:vw2); (0,2,0,0:vw2); (0,3,0,0:vw2); (0,0,1,0:vw2); (0,1,1,0:vw2); (0,2,1,0:vw2); (0,3,1,0:vw2); (0,0,2,0:vw2); (0,1,2,0:vw2); (0,2,2,0:vw2); (0,3,2,0:vw2); (0,0,3,0:vw2); (0,1,3,0:vw2); (0,2,3,0:vw2); (0,3,3,0:vw2); (1,0,0,0:vw2); (1,1,0,0:vw2); (1,2,0,0:vw2); (1,3,0,0:vw2); (1,0,1,0:vw2); (1,1,1,0:vw2); (1,2,1,0:vw2); (1,3,1,0:vw2); (1,0,2,0:vw2); (1,1,2,0:vw2); (1,2,2,0:vw2); (1,3,2,0:vw2); (1,0,3,0:vw2); (1,1,3,0:vw2); (1,2,3,0:vw2); (1,3,3,0:vw2); (2,0,0,0:vw2); (2,1,0,0:vw2); (2,2,0,0:vw2); (2,3,0,0:vw2); (2,0,1,0:vw2); (2,1,1,0:vw2); (2,2,1,0:vw2); (2,3,1,0:vw2); (2,0,2,0:vw2); (2,1,2,0:vw2); (2,2,2,0:vw2); (2,3,2,0:vw2); (2,0,3,0:vw2); (2,1,3,0:vw2); (2,2,3,0:vw2); (2,3,3,0:vw2); (3,0,0,0:vw2); (3,1,0,0:vw2); (3,2,0,0:vw2); (3,3,0,0:vw2); (3,0,1,0:vw2); (3,1,1,0:vw2); (3,2,1,0:vw2); (3,3,1,0:vw2); (3,0,2,0:vw2); (3,1,2,0:vw2); (3,2,2,0:vw2); (3,3,2,0:vw2) */
/******************************************/

/* calc coords, apply mask, and issue loads (if necessary) */
/* (d1,vc1,d0,vc0)=(0,0,0,0) */
v_cmp_lt_u32 s[52:53], v0, s[sgprSizeI]            // coord0 < size0
v_cmp_lt_u32 s[56:57], v1, s[sgprSizeJ]            // coord1 < size1
s_and_b64 s[56:57], s[52:53], s[56:57]             // in0 && in1
_v_add_lshl_u32 v10, v2, v0, 0x1                   // scaleToBpe: accumulate d0 lower and *= bpe into Cin addr
v_cndmask_b32 v10, -1, v10, s[56:57]               // LDC clip if OOB. offset
_buffer_load_b32 v11, v10, s[sgprSrdC:sgprSrdC+3], 0, offen offset:0,  sc0 sc1 // load C for beta calc
_v_add_lshl_u32 v10, v3, v0, 0x1                   // scaleToBpe: accumulate d0 lower and *= bpe into Cin addr
v_cndmask_b32 v10, -1, v10, s[56:57]               // LDD clip if OOB. offset
/* (d1,vc1,d0,vc0)=(0,0,1,0) */
_v_add_co_u32 v4, vcc, v0, 64                      // coord0.1: coord0 += d0*sg0*VW + vc0
v_cmp_lt_u32 s[52:53], v4, s[sgprSizeI]            // coord0 < size0
v_cmp_lt_u32 s[56:57], v1, s[sgprSizeJ]            // coord1 < size1
s_and_b64 s[56:57], s[52:53], s[56:57]             // in0 && in1
_v_add_lshl_u32 v14, v2, v4, 0x1                   // scaleToBpe: accumulate d0 lower and *= bpe into Cin addr
v_cndmask_b32 v14, -1, v14, s[56:57]               // LDC clip if OOB. offset
_buffer_load_b32 v15, v14, s[sgprSrdC:sgprSrdC+3], 0, offen offset:0,  sc0 sc1 // load C for beta calc
_v_add_lshl_u32 v14, v3, v4, 0x1                   // scaleToBpe: accumulate d0 lower and *= bpe into Cin addr
v_cndmask_b32 v14, -1, v14, s[56:57]               // LDD clip if OOB. offset
/* (d1,vc1,d0,vc0)=(0,0,2,0) */
s_mov_b32 s52, 128                                 // coordOffset0 d0=2 vc0=0
_v_add_co_u32 v4, vcc, v0, s52                     // coord0.2: coord0 += d0*sg0*VW + vc0
v_cmp_lt_u32 s[52:53], v4, s[sgprSizeI]            // coord0 < size0
v_cmp_lt_u32 s[56:57], v1, s[sgprSizeJ]            // coord1 < size1
s_and_b64 s[56:57], s[52:53], s[56:57]             // in0 && in1
_v_add_lshl_u32 v18, v2, v4, 0x1                   // scaleToBpe: accumulate d0 lower and *= bpe into Cin addr
v_cndmask_b32 v18, -1, v18, s[56:57]               // LDC clip if OOB. offset
_buffer_load_b32 v19, v18, s[sgprSrdC:sgprSrdC+3], 0, offen offset:0,  sc0 sc1 // load C for beta calc
_v_add_lshl_u32 v18, v3, v4, 0x1                   // scaleToBpe: accumulate d0 lower and *= bpe into Cin addr
v_cndmask_b32 v18, -1, v18, s[56:57]               // LDD clip if OOB. offset
/* (d1,vc1,d0,vc0)=(0,0,3,0) */
s_mov_b32 s52, 192                                 // coordOffset0 d0=3 vc0=0
_v_add_co_u32 v4, vcc, v0, s52                     // coord0.2: coord0 += d0*sg0*VW + vc0
v_cmp_lt_u32 s[52:53], v4, s[sgprSizeI]            // coord0 < size0
v_cmp_lt_u32 s[56:57], v1, s[sgprSizeJ]            // coord1 < size1
s_and_b64 s[56:57], s[52:53], s[56:57]             // in0 && in1
_v_add_lshl_u32 v22, v2, v4, 0x1                   // scaleToBpe: accumulate d0 lower and *= bpe into Cin addr
v_cndmask_b32 v22, -1, v22, s[56:57]               // LDC clip if OOB. offset
_buffer_load_b32 v23, v22, s[sgprSrdC:sgprSrdC+3], 0, offen offset:0,  sc0 sc1 // load C for beta calc
_v_add_lshl_u32 v22, v3, v4, 0x1                   // scaleToBpe: accumulate d0 lower and *= bpe into Cin addr
v_cndmask_b32 v22, -1, v22, s[56:57]               // LDD clip if OOB. offset
/* (d1,vc1,d0,vc0)=(0,1,0,0) */
_v_add_co_u32 v1, vcc, v1, 1                       // coord1.1: coord1Vgpr += d1*sg1*VW + vc1

/* Fix for UseInitialStridesCD, emitAddressSetupCode */
_v_add_u32 v2, v2, s[sgprStrideC1J]                // ROWINC- Move cinRowPtr to next row
_v_add_u32 v3, v3, s[sgprStrideD1J]                // Move coutRowPtr to next row
v_cmp_lt_u32 s[52:53], v0, s[sgprSizeI]            // coord0 < size0
v_cmp_lt_u32 s[56:57], v1, s[sgprSizeJ]            // coord1 < size1
s_and_b64 s[56:57], s[52:53], s[56:57]             // in0 && in1
_v_add_lshl_u32 v26, v2, v0, 0x1                   // scaleToBpe: accumulate d0 lower and *= bpe into Cin addr
v_cndmask_b32 v26, -1, v26, s[56:57]               // LDC clip if OOB. offset
_buffer_load_b32 v27, v26, s[sgprSrdC:sgprSrdC+3], 0, offen offset:0,  sc0 sc1 // load C for beta calc
_v_add_lshl_u32 v26, v3, v0, 0x1                   // scaleToBpe: accumulate d0 lower and *= bpe into Cin addr
v_cndmask_b32 v26, -1, v26, s[56:57]               // LDD clip if OOB. offset
/* (d1,vc1,d0,vc0)=(0,1,1,0) */
_v_add_co_u32 v4, vcc, v0, 64                      // coord0.1: coord0 += d0*sg0*VW + vc0
v_cmp_lt_u32 s[52:53], v4, s[sgprSizeI]            // coord0 < size0
v_cmp_lt_u32 s[56:57], v1, s[sgprSizeJ]            // coord1 < size1
s_and_b64 s[56:57], s[52:53], s[56:57]             // in0 && in1
_v_add_lshl_u32 v30, v2, v4, 0x1                   // scaleToBpe: accumulate d0 lower and *= bpe into Cin addr
v_cndmask_b32 v30, -1, v30, s[56:57]               // LDC clip if OOB. offset
_buffer_load_b32 v31, v30, s[sgprSrdC:sgprSrdC+3], 0, offen offset:0,  sc0 sc1 // load C for beta calc
_v_add_lshl_u32 v30, v3, v4, 0x1                   // scaleToBpe: accumulate d0 lower and *= bpe into Cin addr
v_cndmask_b32 v30, -1, v30, s[56:57]               // LDD clip if OOB. offset
/* (d1,vc1,d0,vc0)=(0,1,2,0) */
s_mov_b32 s52, 128                                 // coordOffset0 d0=2 vc0=0
_v_add_co_u32 v4, vcc, v0, s52                     // coord0.2: coord0 += d0*sg0*VW + vc0
v_cmp_lt_u32 s[52:53], v4, s[sgprSizeI]            // coord0 < size0
v_cmp_lt_u32 s[56:57], v1, s[sgprSizeJ]            // coord1 < size1
s_and_b64 s[56:57], s[52:53], s[56:57]             // in0 && in1
_v_add_lshl_u32 v34, v2, v4, 0x1                   // scaleToBpe: accumulate d0 lower and *= bpe into Cin addr
v_cndmask_b32 v34, -1, v34, s[56:57]               // LDC clip if OOB. offset
_buffer_load_b32 v35, v34, s[sgprSrdC:sgprSrdC+3], 0, offen offset:0,  sc0 sc1 // load C for beta calc
_v_add_lshl_u32 v34, v3, v4, 0x1                   // scaleToBpe: accumulate d0 lower and *= bpe into Cin addr
v_cndmask_b32 v34, -1, v34, s[56:57]               // LDD clip if OOB. offset
/* (d1,vc1,d0,vc0)=(0,1,3,0) */
s_mov_b32 s52, 192                                 // coordOffset0 d0=3 vc0=0
_v_add_co_u32 v4, vcc, v0, s52                     // coord0.2: coord0 += d0*sg0*VW + vc0
v_cmp_lt_u32 s[52:53], v4, s[sgprSizeI]            // coord0 < size0
v_cmp_lt_u32 s[56:57], v1, s[sgprSizeJ]            // coord1 < size1
s_and_b64 s[56:57], s[52:53], s[56:57]             // in0 && in1
_v_add_lshl_u32 v38, v2, v4, 0x1                   // scaleToBpe: accumulate d0 lower and *= bpe into Cin addr
v_cndmask_b32 v38, -1, v38, s[56:57]               // LDC clip if OOB. offset
_buffer_load_b32 v39, v38, s[sgprSrdC:sgprSrdC+3], 0, offen offset:0,  sc0 sc1 // load C for beta calc
_v_add_lshl_u32 v38, v3, v4, 0x1                   // scaleToBpe: accumulate d0 lower and *= bpe into Cin addr
v_cndmask_b32 v38, -1, v38, s[56:57]               // LDD clip if OOB. offset
/* (d1,vc1,d0,vc0)=(0,2,0,0) */
_v_add_co_u32 v1, vcc, v1, 1                       // coord1.1: coord1Vgpr += d1*sg1*VW + vc1

/* Fix for UseInitialStridesCD, emitAddressSetupCode */
_v_add_u32 v2, v2, s[sgprStrideC1J]                // ROWINC- Move cinRowPtr to next row
_v_add_u32 v3, v3, s[sgprStrideD1J]                // Move coutRowPtr to next row
	;; [unrolled: 46-line block ×3, first 2 shown]
v_cmp_lt_u32 s[52:53], v0, s[sgprSizeI]            // coord0 < size0
v_cmp_lt_u32 s[56:57], v1, s[sgprSizeJ]            // coord1 < size1
s_and_b64 s[56:57], s[52:53], s[56:57]             // in0 && in1
_v_add_lshl_u32 v58, v2, v0, 0x1                   // scaleToBpe: accumulate d0 lower and *= bpe into Cin addr
v_cndmask_b32 v58, -1, v58, s[56:57]               // LDC clip if OOB. offset
_buffer_load_b32 v59, v58, s[sgprSrdC:sgprSrdC+3], 0, offen offset:0,  sc0 sc1 // load C for beta calc
_v_add_lshl_u32 v58, v3, v0, 0x1                   // scaleToBpe: accumulate d0 lower and *= bpe into Cin addr
v_cndmask_b32 v58, -1, v58, s[56:57]               // LDD clip if OOB. offset
/* (d1,vc1,d0,vc0)=(0,3,1,0) */
_v_add_co_u32 v4, vcc, v0, 64                      // coord0.1: coord0 += d0*sg0*VW + vc0
v_cmp_lt_u32 s[52:53], v4, s[sgprSizeI]            // coord0 < size0
v_cmp_lt_u32 s[56:57], v1, s[sgprSizeJ]            // coord1 < size1
s_and_b64 s[56:57], s[52:53], s[56:57]             // in0 && in1
_v_add_lshl_u32 v62, v2, v4, 0x1                   // scaleToBpe: accumulate d0 lower and *= bpe into Cin addr
v_cndmask_b32 v62, -1, v62, s[56:57]               // LDC clip if OOB. offset
_buffer_load_b32 v63, v62, s[sgprSrdC:sgprSrdC+3], 0, offen offset:0,  sc0 sc1 // load C for beta calc
_v_add_lshl_u32 v62, v3, v4, 0x1                   // scaleToBpe: accumulate d0 lower and *= bpe into Cin addr
v_cndmask_b32 v62, -1, v62, s[56:57]               // LDD clip if OOB. offset
/* (d1,vc1,d0,vc0)=(0,3,2,0) */
s_mov_b32 s52, 128                                 // coordOffset0 d0=2 vc0=0
_v_add_co_u32 v4, vcc, v0, s52                     // coord0.2: coord0 += d0*sg0*VW + vc0
v_cmp_lt_u32 s[52:53], v4, s[sgprSizeI]            // coord0 < size0
v_cmp_lt_u32 s[56:57], v1, s[sgprSizeJ]            // coord1 < size1
s_and_b64 s[56:57], s[52:53], s[56:57]             // in0 && in1
_v_add_lshl_u32 v66, v2, v4, 0x1                   // scaleToBpe: accumulate d0 lower and *= bpe into Cin addr
v_cndmask_b32 v66, -1, v66, s[56:57]               // LDC clip if OOB. offset
_buffer_load_b32 v67, v66, s[sgprSrdC:sgprSrdC+3], 0, offen offset:0,  sc0 sc1 // load C for beta calc
_v_add_lshl_u32 v66, v3, v4, 0x1                   // scaleToBpe: accumulate d0 lower and *= bpe into Cin addr
v_cndmask_b32 v66, -1, v66, s[56:57]               // LDD clip if OOB. offset
/* (d1,vc1,d0,vc0)=(0,3,3,0) */
s_mov_b32 s52, 192                                 // coordOffset0 d0=3 vc0=0
_v_add_co_u32 v4, vcc, v0, s52                     // coord0.2: coord0 += d0*sg0*VW + vc0
v_cmp_lt_u32 s[52:53], v4, s[sgprSizeI]            // coord0 < size0
v_cmp_lt_u32 s[56:57], v1, s[sgprSizeJ]            // coord1 < size1
s_and_b64 s[56:57], s[52:53], s[56:57]             // in0 && in1
_v_add_lshl_u32 v70, v2, v4, 0x1                   // scaleToBpe: accumulate d0 lower and *= bpe into Cin addr
v_cndmask_b32 v70, -1, v70, s[56:57]               // LDC clip if OOB. offset
_buffer_load_b32 v71, v70, s[sgprSrdC:sgprSrdC+3], 0, offen offset:0,  sc0 sc1 // load C for beta calc
_v_add_lshl_u32 v70, v3, v4, 0x1                   // scaleToBpe: accumulate d0 lower and *= bpe into Cin addr
v_cndmask_b32 v70, -1, v70, s[56:57]               // LDD clip if OOB. offset
/* (d1,vc1,d0,vc0)=(1,0,0,0) */
_v_add_co_u32 v1, vcc, v1, 29                      // coord1.1: coord1Vgpr += d1*sg1*VW + vc1

/* Fix for UseInitialStridesCD, emitAddressSetupCode */
s_mul_i32 s52, s[sgprStrideC1J], 29                // scale stride
_v_add_u32 v2, v2, s52                             // ROWINC- Move cinRowPtr to next row
s_mul_i32 s52, s[sgprStrideD1J], 29                // scale stride
_v_add_u32 v3, v3, s52                             // Move coutRowPtr to next row
v_cmp_lt_u32 s[52:53], v0, s[sgprSizeI]            // coord0 < size0
v_cmp_lt_u32 s[56:57], v1, s[sgprSizeJ]            // coord1 < size1
s_and_b64 s[56:57], s[52:53], s[56:57]             // in0 && in1
_v_add_lshl_u32 v74, v2, v0, 0x1                   // scaleToBpe: accumulate d0 lower and *= bpe into Cin addr
v_cndmask_b32 v74, -1, v74, s[56:57]               // LDC clip if OOB. offset
_buffer_load_b32 v75, v74, s[sgprSrdC:sgprSrdC+3], 0, offen offset:0,  sc0 sc1 // load C for beta calc
_v_add_lshl_u32 v74, v3, v0, 0x1                   // scaleToBpe: accumulate d0 lower and *= bpe into Cin addr
v_cndmask_b32 v74, -1, v74, s[56:57]               // LDD clip if OOB. offset
/* (d1,vc1,d0,vc0)=(1,0,1,0) */
_v_add_co_u32 v4, vcc, v0, 64                      // coord0.1: coord0 += d0*sg0*VW + vc0
v_cmp_lt_u32 s[52:53], v4, s[sgprSizeI]            // coord0 < size0
v_cmp_lt_u32 s[56:57], v1, s[sgprSizeJ]            // coord1 < size1
s_and_b64 s[56:57], s[52:53], s[56:57]             // in0 && in1
_v_add_lshl_u32 v78, v2, v4, 0x1                   // scaleToBpe: accumulate d0 lower and *= bpe into Cin addr
v_cndmask_b32 v78, -1, v78, s[56:57]               // LDC clip if OOB. offset
_buffer_load_b32 v79, v78, s[sgprSrdC:sgprSrdC+3], 0, offen offset:0,  sc0 sc1 // load C for beta calc
_v_add_lshl_u32 v78, v3, v4, 0x1                   // scaleToBpe: accumulate d0 lower and *= bpe into Cin addr
v_cndmask_b32 v78, -1, v78, s[56:57]               // LDD clip if OOB. offset
/* (d1,vc1,d0,vc0)=(1,0,2,0) */
s_mov_b32 s52, 128                                 // coordOffset0 d0=2 vc0=0
_v_add_co_u32 v4, vcc, v0, s52                     // coord0.2: coord0 += d0*sg0*VW + vc0
v_cmp_lt_u32 s[52:53], v4, s[sgprSizeI]            // coord0 < size0
v_cmp_lt_u32 s[56:57], v1, s[sgprSizeJ]            // coord1 < size1
s_and_b64 s[56:57], s[52:53], s[56:57]             // in0 && in1
_v_add_lshl_u32 v82, v2, v4, 0x1                   // scaleToBpe: accumulate d0 lower and *= bpe into Cin addr
v_cndmask_b32 v82, -1, v82, s[56:57]               // LDC clip if OOB. offset
_buffer_load_b32 v83, v82, s[sgprSrdC:sgprSrdC+3], 0, offen offset:0,  sc0 sc1 // load C for beta calc
_v_add_lshl_u32 v82, v3, v4, 0x1                   // scaleToBpe: accumulate d0 lower and *= bpe into Cin addr
v_cndmask_b32 v82, -1, v82, s[56:57]               // LDD clip if OOB. offset
/* (d1,vc1,d0,vc0)=(1,0,3,0) */
s_mov_b32 s52, 192                                 // coordOffset0 d0=3 vc0=0
_v_add_co_u32 v4, vcc, v0, s52                     // coord0.2: coord0 += d0*sg0*VW + vc0
v_cmp_lt_u32 s[52:53], v4, s[sgprSizeI]            // coord0 < size0
v_cmp_lt_u32 s[56:57], v1, s[sgprSizeJ]            // coord1 < size1
s_and_b64 s[56:57], s[52:53], s[56:57]             // in0 && in1
_v_add_lshl_u32 v86, v2, v4, 0x1                   // scaleToBpe: accumulate d0 lower and *= bpe into Cin addr
v_cndmask_b32 v86, -1, v86, s[56:57]               // LDC clip if OOB. offset
_buffer_load_b32 v87, v86, s[sgprSrdC:sgprSrdC+3], 0, offen offset:0,  sc0 sc1 // load C for beta calc
_v_add_lshl_u32 v86, v3, v4, 0x1                   // scaleToBpe: accumulate d0 lower and *= bpe into Cin addr
v_cndmask_b32 v86, -1, v86, s[56:57]               // LDD clip if OOB. offset
/* (d1,vc1,d0,vc0)=(1,1,0,0) */
_v_add_co_u32 v1, vcc, v1, 1                       // coord1.1: coord1Vgpr += d1*sg1*VW + vc1

/* Fix for UseInitialStridesCD, emitAddressSetupCode */
_v_add_u32 v2, v2, s[sgprStrideC1J]                // ROWINC- Move cinRowPtr to next row
_v_add_u32 v3, v3, s[sgprStrideD1J]                // Move coutRowPtr to next row
v_cmp_lt_u32 s[52:53], v0, s[sgprSizeI]            // coord0 < size0
v_cmp_lt_u32 s[56:57], v1, s[sgprSizeJ]            // coord1 < size1
s_and_b64 s[56:57], s[52:53], s[56:57]             // in0 && in1
_v_add_lshl_u32 v90, v2, v0, 0x1                   // scaleToBpe: accumulate d0 lower and *= bpe into Cin addr
v_cndmask_b32 v90, -1, v90, s[56:57]               // LDC clip if OOB. offset
_buffer_load_b32 v91, v90, s[sgprSrdC:sgprSrdC+3], 0, offen offset:0,  sc0 sc1 // load C for beta calc
_v_add_lshl_u32 v90, v3, v0, 0x1                   // scaleToBpe: accumulate d0 lower and *= bpe into Cin addr
v_cndmask_b32 v90, -1, v90, s[56:57]               // LDD clip if OOB. offset
/* (d1,vc1,d0,vc0)=(1,1,1,0) */
_v_add_co_u32 v4, vcc, v0, 64                      // coord0.1: coord0 += d0*sg0*VW + vc0
v_cmp_lt_u32 s[52:53], v4, s[sgprSizeI]            // coord0 < size0
v_cmp_lt_u32 s[56:57], v1, s[sgprSizeJ]            // coord1 < size1
s_and_b64 s[56:57], s[52:53], s[56:57]             // in0 && in1
_v_add_lshl_u32 v94, v2, v4, 0x1                   // scaleToBpe: accumulate d0 lower and *= bpe into Cin addr
v_cndmask_b32 v94, -1, v94, s[56:57]               // LDC clip if OOB. offset
_buffer_load_b32 v95, v94, s[sgprSrdC:sgprSrdC+3], 0, offen offset:0,  sc0 sc1 // load C for beta calc
_v_add_lshl_u32 v94, v3, v4, 0x1                   // scaleToBpe: accumulate d0 lower and *= bpe into Cin addr
v_cndmask_b32 v94, -1, v94, s[56:57]               // LDD clip if OOB. offset
/* (d1,vc1,d0,vc0)=(1,1,2,0) */
s_mov_b32 s52, 128                                 // coordOffset0 d0=2 vc0=0
_v_add_co_u32 v4, vcc, v0, s52                     // coord0.2: coord0 += d0*sg0*VW + vc0
v_cmp_lt_u32 s[52:53], v4, s[sgprSizeI]            // coord0 < size0
v_cmp_lt_u32 s[56:57], v1, s[sgprSizeJ]            // coord1 < size1
s_and_b64 s[56:57], s[52:53], s[56:57]             // in0 && in1
_v_add_lshl_u32 v98, v2, v4, 0x1                   // scaleToBpe: accumulate d0 lower and *= bpe into Cin addr
v_cndmask_b32 v98, -1, v98, s[56:57]               // LDC clip if OOB. offset
_buffer_load_b32 v99, v98, s[sgprSrdC:sgprSrdC+3], 0, offen offset:0,  sc0 sc1 // load C for beta calc
_v_add_lshl_u32 v98, v3, v4, 0x1                   // scaleToBpe: accumulate d0 lower and *= bpe into Cin addr
v_cndmask_b32 v98, -1, v98, s[56:57]               // LDD clip if OOB. offset
/* (d1,vc1,d0,vc0)=(1,1,3,0) */
s_mov_b32 s52, 192                                 // coordOffset0 d0=3 vc0=0
_v_add_co_u32 v4, vcc, v0, s52                     // coord0.2: coord0 += d0*sg0*VW + vc0
v_cmp_lt_u32 s[52:53], v4, s[sgprSizeI]            // coord0 < size0
v_cmp_lt_u32 s[56:57], v1, s[sgprSizeJ]            // coord1 < size1
s_and_b64 s[56:57], s[52:53], s[56:57]             // in0 && in1
_v_add_lshl_u32 v102, v2, v4, 0x1                  // scaleToBpe: accumulate d0 lower and *= bpe into Cin addr
v_cndmask_b32 v102, -1, v102, s[56:57]             // LDC clip if OOB. offset
_buffer_load_b32 v103, v102, s[sgprSrdC:sgprSrdC+3], 0, offen offset:0,  sc0 sc1 // load C for beta calc
_v_add_lshl_u32 v102, v3, v4, 0x1                  // scaleToBpe: accumulate d0 lower and *= bpe into Cin addr
v_cndmask_b32 v102, -1, v102, s[56:57]             // LDD clip if OOB. offset
/* (d1,vc1,d0,vc0)=(1,2,0,0) */
_v_add_co_u32 v1, vcc, v1, 1                       // coord1.1: coord1Vgpr += d1*sg1*VW + vc1

/* Fix for UseInitialStridesCD, emitAddressSetupCode */
_v_add_u32 v2, v2, s[sgprStrideC1J]                // ROWINC- Move cinRowPtr to next row
_v_add_u32 v3, v3, s[sgprStrideD1J]                // Move coutRowPtr to next row
v_cmp_lt_u32 s[52:53], v0, s[sgprSizeI]            // coord0 < size0
v_cmp_lt_u32 s[56:57], v1, s[sgprSizeJ]            // coord1 < size1
s_and_b64 s[56:57], s[52:53], s[56:57]             // in0 && in1
_v_add_lshl_u32 v106, v2, v0, 0x1                  // scaleToBpe: accumulate d0 lower and *= bpe into Cin addr
v_cndmask_b32 v106, -1, v106, s[56:57]             // LDC clip if OOB. offset
_buffer_load_b32 v107, v106, s[sgprSrdC:sgprSrdC+3], 0, offen offset:0,  sc0 sc1 // load C for beta calc
_v_add_lshl_u32 v106, v3, v0, 0x1                  // scaleToBpe: accumulate d0 lower and *= bpe into Cin addr
v_cndmask_b32 v106, -1, v106, s[56:57]             // LDD clip if OOB. offset
/* (d1,vc1,d0,vc0)=(1,2,1,0) */
_v_add_co_u32 v4, vcc, v0, 64                      // coord0.1: coord0 += d0*sg0*VW + vc0
v_cmp_lt_u32 s[52:53], v4, s[sgprSizeI]            // coord0 < size0
v_cmp_lt_u32 s[56:57], v1, s[sgprSizeJ]            // coord1 < size1
s_and_b64 s[56:57], s[52:53], s[56:57]             // in0 && in1
_v_add_lshl_u32 v110, v2, v4, 0x1                  // scaleToBpe: accumulate d0 lower and *= bpe into Cin addr
v_cndmask_b32 v110, -1, v110, s[56:57]             // LDC clip if OOB. offset
_buffer_load_b32 v111, v110, s[sgprSrdC:sgprSrdC+3], 0, offen offset:0,  sc0 sc1 // load C for beta calc
_v_add_lshl_u32 v110, v3, v4, 0x1                  // scaleToBpe: accumulate d0 lower and *= bpe into Cin addr
v_cndmask_b32 v110, -1, v110, s[56:57]             // LDD clip if OOB. offset
/* (d1,vc1,d0,vc0)=(1,2,2,0) */
s_mov_b32 s52, 128                                 // coordOffset0 d0=2 vc0=0
_v_add_co_u32 v4, vcc, v0, s52                     // coord0.2: coord0 += d0*sg0*VW + vc0
v_cmp_lt_u32 s[52:53], v4, s[sgprSizeI]            // coord0 < size0
v_cmp_lt_u32 s[56:57], v1, s[sgprSizeJ]            // coord1 < size1
s_and_b64 s[56:57], s[52:53], s[56:57]             // in0 && in1
_v_add_lshl_u32 v114, v2, v4, 0x1                  // scaleToBpe: accumulate d0 lower and *= bpe into Cin addr
v_cndmask_b32 v114, -1, v114, s[56:57]             // LDC clip if OOB. offset
_buffer_load_b32 v115, v114, s[sgprSrdC:sgprSrdC+3], 0, offen offset:0,  sc0 sc1 // load C for beta calc
_v_add_lshl_u32 v114, v3, v4, 0x1                  // scaleToBpe: accumulate d0 lower and *= bpe into Cin addr
v_cndmask_b32 v114, -1, v114, s[56:57]             // LDD clip if OOB. offset
/* (d1,vc1,d0,vc0)=(1,2,3,0) */
s_mov_b32 s52, 192                                 // coordOffset0 d0=3 vc0=0
_v_add_co_u32 v4, vcc, v0, s52                     // coord0.2: coord0 += d0*sg0*VW + vc0
v_cmp_lt_u32 s[52:53], v4, s[sgprSizeI]            // coord0 < size0
v_cmp_lt_u32 s[56:57], v1, s[sgprSizeJ]            // coord1 < size1
s_and_b64 s[56:57], s[52:53], s[56:57]             // in0 && in1
_v_add_lshl_u32 v118, v2, v4, 0x1                  // scaleToBpe: accumulate d0 lower and *= bpe into Cin addr
v_cndmask_b32 v118, -1, v118, s[56:57]             // LDC clip if OOB. offset
_buffer_load_b32 v119, v118, s[sgprSrdC:sgprSrdC+3], 0, offen offset:0,  sc0 sc1 // load C for beta calc
_v_add_lshl_u32 v118, v3, v4, 0x1                  // scaleToBpe: accumulate d0 lower and *= bpe into Cin addr
v_cndmask_b32 v118, -1, v118, s[56:57]             // LDD clip if OOB. offset
/* (d1,vc1,d0,vc0)=(1,3,0,0) */
_v_add_co_u32 v1, vcc, v1, 1                       // coord1.1: coord1Vgpr += d1*sg1*VW + vc1

/* Fix for UseInitialStridesCD, emitAddressSetupCode */
_v_add_u32 v2, v2, s[sgprStrideC1J]                // ROWINC- Move cinRowPtr to next row
_v_add_u32 v3, v3, s[sgprStrideD1J]                // Move coutRowPtr to next row
v_cmp_lt_u32 s[52:53], v0, s[sgprSizeI]            // coord0 < size0
v_cmp_lt_u32 s[56:57], v1, s[sgprSizeJ]            // coord1 < size1
s_and_b64 s[56:57], s[52:53], s[56:57]             // in0 && in1
_v_add_lshl_u32 v122, v2, v0, 0x1                  // scaleToBpe: accumulate d0 lower and *= bpe into Cin addr
v_cndmask_b32 v122, -1, v122, s[56:57]             // LDC clip if OOB. offset
_buffer_load_b32 v123, v122, s[sgprSrdC:sgprSrdC+3], 0, offen offset:0,  sc0 sc1 // load C for beta calc
_v_add_lshl_u32 v122, v3, v0, 0x1                  // scaleToBpe: accumulate d0 lower and *= bpe into Cin addr
v_cndmask_b32 v122, -1, v122, s[56:57]             // LDD clip if OOB. offset
/* (d1,vc1,d0,vc0)=(1,3,1,0) */
_v_add_co_u32 v4, vcc, v0, 64                      // coord0.1: coord0 += d0*sg0*VW + vc0
v_cmp_lt_u32 s[52:53], v4, s[sgprSizeI]            // coord0 < size0
v_cmp_lt_u32 s[56:57], v1, s[sgprSizeJ]            // coord1 < size1
s_and_b64 s[56:57], s[52:53], s[56:57]             // in0 && in1
_v_add_lshl_u32 v126, v2, v4, 0x1                  // scaleToBpe: accumulate d0 lower and *= bpe into Cin addr
v_cndmask_b32 v126, -1, v126, s[56:57]             // LDC clip if OOB. offset
_buffer_load_b32 v127, v126, s[sgprSrdC:sgprSrdC+3], 0, offen offset:0,  sc0 sc1 // load C for beta calc
_v_add_lshl_u32 v126, v3, v4, 0x1                  // scaleToBpe: accumulate d0 lower and *= bpe into Cin addr
v_cndmask_b32 v126, -1, v126, s[56:57]             // LDD clip if OOB. offset
/* (d1,vc1,d0,vc0)=(1,3,2,0) */
s_mov_b32 s52, 128                                 // coordOffset0 d0=2 vc0=0
_v_add_co_u32 v4, vcc, v0, s52                     // coord0.2: coord0 += d0*sg0*VW + vc0
v_cmp_lt_u32 s[52:53], v4, s[sgprSizeI]            // coord0 < size0
v_cmp_lt_u32 s[56:57], v1, s[sgprSizeJ]            // coord1 < size1
s_and_b64 s[56:57], s[52:53], s[56:57]             // in0 && in1
_v_add_lshl_u32 v130, v2, v4, 0x1                  // scaleToBpe: accumulate d0 lower and *= bpe into Cin addr
v_cndmask_b32 v130, -1, v130, s[56:57]             // LDC clip if OOB. offset
_buffer_load_b32 v131, v130, s[sgprSrdC:sgprSrdC+3], 0, offen offset:0,  sc0 sc1 // load C for beta calc
_v_add_lshl_u32 v130, v3, v4, 0x1                  // scaleToBpe: accumulate d0 lower and *= bpe into Cin addr
v_cndmask_b32 v130, -1, v130, s[56:57]             // LDD clip if OOB. offset
/* (d1,vc1,d0,vc0)=(1,3,3,0) */
s_mov_b32 s52, 192                                 // coordOffset0 d0=3 vc0=0
_v_add_co_u32 v4, vcc, v0, s52                     // coord0.2: coord0 += d0*sg0*VW + vc0
v_cmp_lt_u32 s[52:53], v4, s[sgprSizeI]            // coord0 < size0
v_cmp_lt_u32 s[56:57], v1, s[sgprSizeJ]            // coord1 < size1
s_and_b64 s[56:57], s[52:53], s[56:57]             // in0 && in1
_v_add_lshl_u32 v134, v2, v4, 0x1                  // scaleToBpe: accumulate d0 lower and *= bpe into Cin addr
v_cndmask_b32 v134, -1, v134, s[56:57]             // LDC clip if OOB. offset
_buffer_load_b32 v135, v134, s[sgprSrdC:sgprSrdC+3], 0, offen offset:0,  sc0 sc1 // load C for beta calc
_v_add_lshl_u32 v134, v3, v4, 0x1                  // scaleToBpe: accumulate d0 lower and *= bpe into Cin addr
v_cndmask_b32 v134, -1, v134, s[56:57]             // LDD clip if OOB. offset
/* (d1,vc1,d0,vc0)=(2,0,0,0) */
_v_add_co_u32 v1, vcc, v1, 29                      // coord1.1: coord1Vgpr += d1*sg1*VW + vc1

/* Fix for UseInitialStridesCD, emitAddressSetupCode */
s_mul_i32 s52, s[sgprStrideC1J], 29                // scale stride
_v_add_u32 v2, v2, s52                             // ROWINC- Move cinRowPtr to next row
s_mul_i32 s52, s[sgprStrideD1J], 29                // scale stride
_v_add_u32 v3, v3, s52                             // Move coutRowPtr to next row
v_cmp_lt_u32 s[52:53], v0, s[sgprSizeI]            // coord0 < size0
v_cmp_lt_u32 s[56:57], v1, s[sgprSizeJ]            // coord1 < size1
s_and_b64 s[56:57], s[52:53], s[56:57]             // in0 && in1
_v_add_lshl_u32 v138, v2, v0, 0x1                  // scaleToBpe: accumulate d0 lower and *= bpe into Cin addr
v_cndmask_b32 v138, -1, v138, s[56:57]             // LDC clip if OOB. offset
_buffer_load_b32 v139, v138, s[sgprSrdC:sgprSrdC+3], 0, offen offset:0,  sc0 sc1 // load C for beta calc
_v_add_lshl_u32 v138, v3, v0, 0x1                  // scaleToBpe: accumulate d0 lower and *= bpe into Cin addr
v_cndmask_b32 v138, -1, v138, s[56:57]             // LDD clip if OOB. offset
/* (d1,vc1,d0,vc0)=(2,0,1,0) */
_v_add_co_u32 v4, vcc, v0, 64                      // coord0.1: coord0 += d0*sg0*VW + vc0
v_cmp_lt_u32 s[52:53], v4, s[sgprSizeI]            // coord0 < size0
v_cmp_lt_u32 s[56:57], v1, s[sgprSizeJ]            // coord1 < size1
s_and_b64 s[56:57], s[52:53], s[56:57]             // in0 && in1
_v_add_lshl_u32 v142, v2, v4, 0x1                  // scaleToBpe: accumulate d0 lower and *= bpe into Cin addr
v_cndmask_b32 v142, -1, v142, s[56:57]             // LDC clip if OOB. offset
_buffer_load_b32 v143, v142, s[sgprSrdC:sgprSrdC+3], 0, offen offset:0,  sc0 sc1 // load C for beta calc
_v_add_lshl_u32 v142, v3, v4, 0x1                  // scaleToBpe: accumulate d0 lower and *= bpe into Cin addr
v_cndmask_b32 v142, -1, v142, s[56:57]             // LDD clip if OOB. offset
/* (d1,vc1,d0,vc0)=(2,0,2,0) */
s_mov_b32 s52, 128                                 // coordOffset0 d0=2 vc0=0
_v_add_co_u32 v4, vcc, v0, s52                     // coord0.2: coord0 += d0*sg0*VW + vc0
v_cmp_lt_u32 s[52:53], v4, s[sgprSizeI]            // coord0 < size0
v_cmp_lt_u32 s[56:57], v1, s[sgprSizeJ]            // coord1 < size1
s_and_b64 s[56:57], s[52:53], s[56:57]             // in0 && in1
_v_add_lshl_u32 v146, v2, v4, 0x1                  // scaleToBpe: accumulate d0 lower and *= bpe into Cin addr
v_cndmask_b32 v146, -1, v146, s[56:57]             // LDC clip if OOB. offset
_buffer_load_b32 v147, v146, s[sgprSrdC:sgprSrdC+3], 0, offen offset:0,  sc0 sc1 // load C for beta calc
_v_add_lshl_u32 v146, v3, v4, 0x1                  // scaleToBpe: accumulate d0 lower and *= bpe into Cin addr
v_cndmask_b32 v146, -1, v146, s[56:57]             // LDD clip if OOB. offset
/* (d1,vc1,d0,vc0)=(2,0,3,0) */
s_mov_b32 s52, 192                                 // coordOffset0 d0=3 vc0=0
_v_add_co_u32 v4, vcc, v0, s52                     // coord0.2: coord0 += d0*sg0*VW + vc0
v_cmp_lt_u32 s[52:53], v4, s[sgprSizeI]            // coord0 < size0
v_cmp_lt_u32 s[56:57], v1, s[sgprSizeJ]            // coord1 < size1
s_and_b64 s[56:57], s[52:53], s[56:57]             // in0 && in1
_v_add_lshl_u32 v151, v2, v4, 0x1                  // scaleToBpe: accumulate d0 lower and *= bpe into Cin addr
v_cndmask_b32 v151, -1, v151, s[56:57]             // LDC clip if OOB. offset
_buffer_load_b32 v154, v151, s[sgprSrdC:sgprSrdC+3], 0, offen offset:0,  sc0 sc1 // load C for beta calc
_v_add_lshl_u32 v151, v3, v4, 0x1                  // scaleToBpe: accumulate d0 lower and *= bpe into Cin addr
v_cndmask_b32 v151, -1, v151, s[56:57]             // LDD clip if OOB. offset
/* (d1,vc1,d0,vc0)=(2,1,0,0) */
_v_add_co_u32 v1, vcc, v1, 1                       // coord1.1: coord1Vgpr += d1*sg1*VW + vc1

/* Fix for UseInitialStridesCD, emitAddressSetupCode */
_v_add_u32 v2, v2, s[sgprStrideC1J]                // ROWINC- Move cinRowPtr to next row
_v_add_u32 v3, v3, s[sgprStrideD1J]                // Move coutRowPtr to next row
v_cmp_lt_u32 s[52:53], v0, s[sgprSizeI]            // coord0 < size0
v_cmp_lt_u32 s[56:57], v1, s[sgprSizeJ]            // coord1 < size1
s_and_b64 s[56:57], s[52:53], s[56:57]             // in0 && in1
_v_add_lshl_u32 v155, v2, v0, 0x1                  // scaleToBpe: accumulate d0 lower and *= bpe into Cin addr
v_cndmask_b32 v155, -1, v155, s[56:57]             // LDC clip if OOB. offset
_buffer_load_b32 v158, v155, s[sgprSrdC:sgprSrdC+3], 0, offen offset:0,  sc0 sc1 // load C for beta calc
_v_add_lshl_u32 v155, v3, v0, 0x1                  // scaleToBpe: accumulate d0 lower and *= bpe into Cin addr
v_cndmask_b32 v155, -1, v155, s[56:57]             // LDD clip if OOB. offset
/* (d1,vc1,d0,vc0)=(2,1,1,0) */
_v_add_co_u32 v4, vcc, v0, 64                      // coord0.1: coord0 += d0*sg0*VW + vc0
v_cmp_lt_u32 s[52:53], v4, s[sgprSizeI]            // coord0 < size0
v_cmp_lt_u32 s[56:57], v1, s[sgprSizeJ]            // coord1 < size1
s_and_b64 s[56:57], s[52:53], s[56:57]             // in0 && in1
_v_add_lshl_u32 v159, v2, v4, 0x1                  // scaleToBpe: accumulate d0 lower and *= bpe into Cin addr
v_cndmask_b32 v159, -1, v159, s[56:57]             // LDC clip if OOB. offset
_buffer_load_b32 v162, v159, s[sgprSrdC:sgprSrdC+3], 0, offen offset:0,  sc0 sc1 // load C for beta calc
_v_add_lshl_u32 v159, v3, v4, 0x1                  // scaleToBpe: accumulate d0 lower and *= bpe into Cin addr
v_cndmask_b32 v159, -1, v159, s[56:57]             // LDD clip if OOB. offset
/* (d1,vc1,d0,vc0)=(2,1,2,0) */
s_mov_b32 s52, 128                                 // coordOffset0 d0=2 vc0=0
_v_add_co_u32 v4, vcc, v0, s52                     // coord0.2: coord0 += d0*sg0*VW + vc0
v_cmp_lt_u32 s[52:53], v4, s[sgprSizeI]            // coord0 < size0
v_cmp_lt_u32 s[56:57], v1, s[sgprSizeJ]            // coord1 < size1
s_and_b64 s[56:57], s[52:53], s[56:57]             // in0 && in1
_v_add_lshl_u32 v163, v2, v4, 0x1                  // scaleToBpe: accumulate d0 lower and *= bpe into Cin addr
v_cndmask_b32 v163, -1, v163, s[56:57]             // LDC clip if OOB. offset
_buffer_load_b32 v166, v163, s[sgprSrdC:sgprSrdC+3], 0, offen offset:0,  sc0 sc1 // load C for beta calc
_v_add_lshl_u32 v163, v3, v4, 0x1                  // scaleToBpe: accumulate d0 lower and *= bpe into Cin addr
v_cndmask_b32 v163, -1, v163, s[56:57]             // LDD clip if OOB. offset
/* (d1,vc1,d0,vc0)=(2,1,3,0) */
s_mov_b32 s52, 192                                 // coordOffset0 d0=3 vc0=0
_v_add_co_u32 v4, vcc, v0, s52                     // coord0.2: coord0 += d0*sg0*VW + vc0
v_cmp_lt_u32 s[52:53], v4, s[sgprSizeI]            // coord0 < size0
v_cmp_lt_u32 s[56:57], v1, s[sgprSizeJ]            // coord1 < size1
s_and_b64 s[56:57], s[52:53], s[56:57]             // in0 && in1
_v_add_lshl_u32 v167, v2, v4, 0x1                  // scaleToBpe: accumulate d0 lower and *= bpe into Cin addr
v_cndmask_b32 v167, -1, v167, s[56:57]             // LDC clip if OOB. offset
_buffer_load_b32 v170, v167, s[sgprSrdC:sgprSrdC+3], 0, offen offset:0,  sc0 sc1 // load C for beta calc
_v_add_lshl_u32 v167, v3, v4, 0x1                  // scaleToBpe: accumulate d0 lower and *= bpe into Cin addr
v_cndmask_b32 v167, -1, v167, s[56:57]             // LDD clip if OOB. offset
/* (d1,vc1,d0,vc0)=(2,2,0,0) */
_v_add_co_u32 v1, vcc, v1, 1                       // coord1.1: coord1Vgpr += d1*sg1*VW + vc1

/* Fix for UseInitialStridesCD, emitAddressSetupCode */
_v_add_u32 v2, v2, s[sgprStrideC1J]                // ROWINC- Move cinRowPtr to next row
_v_add_u32 v3, v3, s[sgprStrideD1J]                // Move coutRowPtr to next row
v_cmp_lt_u32 s[52:53], v0, s[sgprSizeI]            // coord0 < size0
v_cmp_lt_u32 s[56:57], v1, s[sgprSizeJ]            // coord1 < size1
s_and_b64 s[56:57], s[52:53], s[56:57]             // in0 && in1
_v_add_lshl_u32 v171, v2, v0, 0x1                  // scaleToBpe: accumulate d0 lower and *= bpe into Cin addr
v_cndmask_b32 v171, -1, v171, s[56:57]             // LDC clip if OOB. offset
_buffer_load_b32 v174, v171, s[sgprSrdC:sgprSrdC+3], 0, offen offset:0,  sc0 sc1 // load C for beta calc
_v_add_lshl_u32 v171, v3, v0, 0x1                  // scaleToBpe: accumulate d0 lower and *= bpe into Cin addr
v_cndmask_b32 v171, -1, v171, s[56:57]             // LDD clip if OOB. offset
/* (d1,vc1,d0,vc0)=(2,2,1,0) */
_v_add_co_u32 v4, vcc, v0, 64                      // coord0.1: coord0 += d0*sg0*VW + vc0
v_cmp_lt_u32 s[52:53], v4, s[sgprSizeI]            // coord0 < size0
v_cmp_lt_u32 s[56:57], v1, s[sgprSizeJ]            // coord1 < size1
s_and_b64 s[56:57], s[52:53], s[56:57]             // in0 && in1
_v_add_lshl_u32 v175, v2, v4, 0x1                  // scaleToBpe: accumulate d0 lower and *= bpe into Cin addr
v_cndmask_b32 v175, -1, v175, s[56:57]             // LDC clip if OOB. offset
_buffer_load_b32 v178, v175, s[sgprSrdC:sgprSrdC+3], 0, offen offset:0,  sc0 sc1 // load C for beta calc
_v_add_lshl_u32 v175, v3, v4, 0x1                  // scaleToBpe: accumulate d0 lower and *= bpe into Cin addr
v_cndmask_b32 v175, -1, v175, s[56:57]             // LDD clip if OOB. offset
/* (d1,vc1,d0,vc0)=(2,2,2,0) */
s_mov_b32 s52, 128                                 // coordOffset0 d0=2 vc0=0
_v_add_co_u32 v4, vcc, v0, s52                     // coord0.2: coord0 += d0*sg0*VW + vc0
v_cmp_lt_u32 s[52:53], v4, s[sgprSizeI]            // coord0 < size0
v_cmp_lt_u32 s[56:57], v1, s[sgprSizeJ]            // coord1 < size1
s_and_b64 s[56:57], s[52:53], s[56:57]             // in0 && in1
_v_add_lshl_u32 v179, v2, v4, 0x1                  // scaleToBpe: accumulate d0 lower and *= bpe into Cin addr
v_cndmask_b32 v179, -1, v179, s[56:57]             // LDC clip if OOB. offset
_buffer_load_b32 v182, v179, s[sgprSrdC:sgprSrdC+3], 0, offen offset:0,  sc0 sc1 // load C for beta calc
_v_add_lshl_u32 v179, v3, v4, 0x1                  // scaleToBpe: accumulate d0 lower and *= bpe into Cin addr
v_cndmask_b32 v179, -1, v179, s[56:57]             // LDD clip if OOB. offset
/* (d1,vc1,d0,vc0)=(2,2,3,0) */
s_mov_b32 s52, 192                                 // coordOffset0 d0=3 vc0=0
_v_add_co_u32 v4, vcc, v0, s52                     // coord0.2: coord0 += d0*sg0*VW + vc0
v_cmp_lt_u32 s[52:53], v4, s[sgprSizeI]            // coord0 < size0
v_cmp_lt_u32 s[56:57], v1, s[sgprSizeJ]            // coord1 < size1
s_and_b64 s[56:57], s[52:53], s[56:57]             // in0 && in1
_v_add_lshl_u32 v183, v2, v4, 0x1                  // scaleToBpe: accumulate d0 lower and *= bpe into Cin addr
v_cndmask_b32 v183, -1, v183, s[56:57]             // LDC clip if OOB. offset
_buffer_load_b32 v186, v183, s[sgprSrdC:sgprSrdC+3], 0, offen offset:0,  sc0 sc1 // load C for beta calc
_v_add_lshl_u32 v183, v3, v4, 0x1                  // scaleToBpe: accumulate d0 lower and *= bpe into Cin addr
v_cndmask_b32 v183, -1, v183, s[56:57]             // LDD clip if OOB. offset
/* (d1,vc1,d0,vc0)=(2,3,0,0) */
_v_add_co_u32 v1, vcc, v1, 1                       // coord1.1: coord1Vgpr += d1*sg1*VW + vc1

/* Fix for UseInitialStridesCD, emitAddressSetupCode */
_v_add_u32 v2, v2, s[sgprStrideC1J]                // ROWINC- Move cinRowPtr to next row
_v_add_u32 v3, v3, s[sgprStrideD1J]                // Move coutRowPtr to next row
v_cmp_lt_u32 s[52:53], v0, s[sgprSizeI]            // coord0 < size0
v_cmp_lt_u32 s[56:57], v1, s[sgprSizeJ]            // coord1 < size1
s_and_b64 s[56:57], s[52:53], s[56:57]             // in0 && in1
_v_add_lshl_u32 v187, v2, v0, 0x1                  // scaleToBpe: accumulate d0 lower and *= bpe into Cin addr
v_cndmask_b32 v187, -1, v187, s[56:57]             // LDC clip if OOB. offset
_buffer_load_b32 v190, v187, s[sgprSrdC:sgprSrdC+3], 0, offen offset:0,  sc0 sc1 // load C for beta calc
_v_add_lshl_u32 v187, v3, v0, 0x1                  // scaleToBpe: accumulate d0 lower and *= bpe into Cin addr
v_cndmask_b32 v187, -1, v187, s[56:57]             // LDD clip if OOB. offset
/* (d1,vc1,d0,vc0)=(2,3,1,0) */
_v_add_co_u32 v4, vcc, v0, 64                      // coord0.1: coord0 += d0*sg0*VW + vc0
v_cmp_lt_u32 s[52:53], v4, s[sgprSizeI]            // coord0 < size0
v_cmp_lt_u32 s[56:57], v1, s[sgprSizeJ]            // coord1 < size1
s_and_b64 s[56:57], s[52:53], s[56:57]             // in0 && in1
_v_add_lshl_u32 v191, v2, v4, 0x1                  // scaleToBpe: accumulate d0 lower and *= bpe into Cin addr
v_cndmask_b32 v191, -1, v191, s[56:57]             // LDC clip if OOB. offset
_buffer_load_b32 v194, v191, s[sgprSrdC:sgprSrdC+3], 0, offen offset:0,  sc0 sc1 // load C for beta calc
_v_add_lshl_u32 v191, v3, v4, 0x1                  // scaleToBpe: accumulate d0 lower and *= bpe into Cin addr
v_cndmask_b32 v191, -1, v191, s[56:57]             // LDD clip if OOB. offset
/* (d1,vc1,d0,vc0)=(2,3,2,0) */
s_mov_b32 s52, 128                                 // coordOffset0 d0=2 vc0=0
_v_add_co_u32 v4, vcc, v0, s52                     // coord0.2: coord0 += d0*sg0*VW + vc0
v_cmp_lt_u32 s[52:53], v4, s[sgprSizeI]            // coord0 < size0
v_cmp_lt_u32 s[56:57], v1, s[sgprSizeJ]            // coord1 < size1
s_and_b64 s[56:57], s[52:53], s[56:57]             // in0 && in1
_v_add_lshl_u32 v195, v2, v4, 0x1                  // scaleToBpe: accumulate d0 lower and *= bpe into Cin addr
v_cndmask_b32 v195, -1, v195, s[56:57]             // LDC clip if OOB. offset
_buffer_load_b32 v198, v195, s[sgprSrdC:sgprSrdC+3], 0, offen offset:0,  sc0 sc1 // load C for beta calc
_v_add_lshl_u32 v195, v3, v4, 0x1                  // scaleToBpe: accumulate d0 lower and *= bpe into Cin addr
v_cndmask_b32 v195, -1, v195, s[56:57]             // LDD clip if OOB. offset
/* (d1,vc1,d0,vc0)=(2,3,3,0) */
s_mov_b32 s52, 192                                 // coordOffset0 d0=3 vc0=0
_v_add_co_u32 v4, vcc, v0, s52                     // coord0.2: coord0 += d0*sg0*VW + vc0
v_cmp_lt_u32 s[52:53], v4, s[sgprSizeI]            // coord0 < size0
v_cmp_lt_u32 s[56:57], v1, s[sgprSizeJ]            // coord1 < size1
s_and_b64 s[56:57], s[52:53], s[56:57]             // in0 && in1
_v_add_lshl_u32 v199, v2, v4, 0x1                  // scaleToBpe: accumulate d0 lower and *= bpe into Cin addr
v_cndmask_b32 v199, -1, v199, s[56:57]             // LDC clip if OOB. offset
_buffer_load_b32 v202, v199, s[sgprSrdC:sgprSrdC+3], 0, offen offset:0,  sc0 sc1 // load C for beta calc
_v_add_lshl_u32 v199, v3, v4, 0x1                  // scaleToBpe: accumulate d0 lower and *= bpe into Cin addr
v_cndmask_b32 v199, -1, v199, s[56:57]             // LDD clip if OOB. offset
/* (d1,vc1,d0,vc0)=(3,0,0,0) */
_v_add_co_u32 v1, vcc, v1, 29                      // coord1.1: coord1Vgpr += d1*sg1*VW + vc1

/* Fix for UseInitialStridesCD, emitAddressSetupCode */
s_mul_i32 s52, s[sgprStrideC1J], 29                // scale stride
_v_add_u32 v2, v2, s52                             // ROWINC- Move cinRowPtr to next row
s_mul_i32 s52, s[sgprStrideD1J], 29                // scale stride
_v_add_u32 v3, v3, s52                             // Move coutRowPtr to next row
v_cmp_lt_u32 s[52:53], v0, s[sgprSizeI]            // coord0 < size0
v_cmp_lt_u32 s[56:57], v1, s[sgprSizeJ]            // coord1 < size1
s_and_b64 s[56:57], s[52:53], s[56:57]             // in0 && in1
_v_add_lshl_u32 v203, v2, v0, 0x1                  // scaleToBpe: accumulate d0 lower and *= bpe into Cin addr
v_cndmask_b32 v203, -1, v203, s[56:57]             // LDC clip if OOB. offset
_buffer_load_b32 v206, v203, s[sgprSrdC:sgprSrdC+3], 0, offen offset:0,  sc0 sc1 // load C for beta calc
_v_add_lshl_u32 v203, v3, v0, 0x1                  // scaleToBpe: accumulate d0 lower and *= bpe into Cin addr
v_cndmask_b32 v203, -1, v203, s[56:57]             // LDD clip if OOB. offset
/* (d1,vc1,d0,vc0)=(3,0,1,0) */
_v_add_co_u32 v4, vcc, v0, 64                      // coord0.1: coord0 += d0*sg0*VW + vc0
v_cmp_lt_u32 s[52:53], v4, s[sgprSizeI]            // coord0 < size0
v_cmp_lt_u32 s[56:57], v1, s[sgprSizeJ]            // coord1 < size1
s_and_b64 s[56:57], s[52:53], s[56:57]             // in0 && in1
_v_add_lshl_u32 v207, v2, v4, 0x1                  // scaleToBpe: accumulate d0 lower and *= bpe into Cin addr
v_cndmask_b32 v207, -1, v207, s[56:57]             // LDC clip if OOB. offset
_buffer_load_b32 v210, v207, s[sgprSrdC:sgprSrdC+3], 0, offen offset:0,  sc0 sc1 // load C for beta calc
_v_add_lshl_u32 v207, v3, v4, 0x1                  // scaleToBpe: accumulate d0 lower and *= bpe into Cin addr
v_cndmask_b32 v207, -1, v207, s[56:57]             // LDD clip if OOB. offset
/* (d1,vc1,d0,vc0)=(3,0,2,0) */
s_mov_b32 s52, 128                                 // coordOffset0 d0=2 vc0=0
_v_add_co_u32 v4, vcc, v0, s52                     // coord0.2: coord0 += d0*sg0*VW + vc0
v_cmp_lt_u32 s[52:53], v4, s[sgprSizeI]            // coord0 < size0
v_cmp_lt_u32 s[56:57], v1, s[sgprSizeJ]            // coord1 < size1
s_and_b64 s[56:57], s[52:53], s[56:57]             // in0 && in1
_v_add_lshl_u32 v211, v2, v4, 0x1                  // scaleToBpe: accumulate d0 lower and *= bpe into Cin addr
v_cndmask_b32 v211, -1, v211, s[56:57]             // LDC clip if OOB. offset
_buffer_load_b32 v214, v211, s[sgprSrdC:sgprSrdC+3], 0, offen offset:0,  sc0 sc1 // load C for beta calc
_v_add_lshl_u32 v211, v3, v4, 0x1                  // scaleToBpe: accumulate d0 lower and *= bpe into Cin addr
v_cndmask_b32 v211, -1, v211, s[56:57]             // LDD clip if OOB. offset
/* (d1,vc1,d0,vc0)=(3,0,3,0) */
s_mov_b32 s52, 192                                 // coordOffset0 d0=3 vc0=0
_v_add_co_u32 v4, vcc, v0, s52                     // coord0.2: coord0 += d0*sg0*VW + vc0
v_cmp_lt_u32 s[52:53], v4, s[sgprSizeI]            // coord0 < size0
v_cmp_lt_u32 s[56:57], v1, s[sgprSizeJ]            // coord1 < size1
s_and_b64 s[56:57], s[52:53], s[56:57]             // in0 && in1
_v_add_lshl_u32 v215, v2, v4, 0x1                  // scaleToBpe: accumulate d0 lower and *= bpe into Cin addr
v_cndmask_b32 v215, -1, v215, s[56:57]             // LDC clip if OOB. offset
_buffer_load_b32 v218, v215, s[sgprSrdC:sgprSrdC+3], 0, offen offset:0,  sc0 sc1 // load C for beta calc
_v_add_lshl_u32 v215, v3, v4, 0x1                  // scaleToBpe: accumulate d0 lower and *= bpe into Cin addr
v_cndmask_b32 v215, -1, v215, s[56:57]             // LDD clip if OOB. offset
/* (d1,vc1,d0,vc0)=(3,1,0,0) */
_v_add_co_u32 v1, vcc, v1, 1                       // coord1.1: coord1Vgpr += d1*sg1*VW + vc1

/* Fix for UseInitialStridesCD, emitAddressSetupCode */
_v_add_u32 v2, v2, s[sgprStrideC1J]                // ROWINC- Move cinRowPtr to next row
_v_add_u32 v3, v3, s[sgprStrideD1J]                // Move coutRowPtr to next row
v_cmp_lt_u32 s[52:53], v0, s[sgprSizeI]            // coord0 < size0
v_cmp_lt_u32 s[56:57], v1, s[sgprSizeJ]            // coord1 < size1
s_and_b64 s[56:57], s[52:53], s[56:57]             // in0 && in1
_v_add_lshl_u32 v219, v2, v0, 0x1                  // scaleToBpe: accumulate d0 lower and *= bpe into Cin addr
v_cndmask_b32 v219, -1, v219, s[56:57]             // LDC clip if OOB. offset
_buffer_load_b32 v222, v219, s[sgprSrdC:sgprSrdC+3], 0, offen offset:0,  sc0 sc1 // load C for beta calc
_v_add_lshl_u32 v219, v3, v0, 0x1                  // scaleToBpe: accumulate d0 lower and *= bpe into Cin addr
v_cndmask_b32 v219, -1, v219, s[56:57]             // LDD clip if OOB. offset
/* (d1,vc1,d0,vc0)=(3,1,1,0) */
_v_add_co_u32 v4, vcc, v0, 64                      // coord0.1: coord0 += d0*sg0*VW + vc0
v_cmp_lt_u32 s[52:53], v4, s[sgprSizeI]            // coord0 < size0
v_cmp_lt_u32 s[56:57], v1, s[sgprSizeJ]            // coord1 < size1
s_and_b64 s[56:57], s[52:53], s[56:57]             // in0 && in1
_v_add_lshl_u32 v223, v2, v4, 0x1                  // scaleToBpe: accumulate d0 lower and *= bpe into Cin addr
v_cndmask_b32 v223, -1, v223, s[56:57]             // LDC clip if OOB. offset
_buffer_load_b32 v226, v223, s[sgprSrdC:sgprSrdC+3], 0, offen offset:0,  sc0 sc1 // load C for beta calc
_v_add_lshl_u32 v223, v3, v4, 0x1                  // scaleToBpe: accumulate d0 lower and *= bpe into Cin addr
v_cndmask_b32 v223, -1, v223, s[56:57]             // LDD clip if OOB. offset
/* (d1,vc1,d0,vc0)=(3,1,2,0) */
s_mov_b32 s52, 128                                 // coordOffset0 d0=2 vc0=0
_v_add_co_u32 v4, vcc, v0, s52                     // coord0.2: coord0 += d0*sg0*VW + vc0
v_cmp_lt_u32 s[52:53], v4, s[sgprSizeI]            // coord0 < size0
v_cmp_lt_u32 s[56:57], v1, s[sgprSizeJ]            // coord1 < size1
s_and_b64 s[56:57], s[52:53], s[56:57]             // in0 && in1
_v_add_lshl_u32 v227, v2, v4, 0x1                  // scaleToBpe: accumulate d0 lower and *= bpe into Cin addr
v_cndmask_b32 v227, -1, v227, s[56:57]             // LDC clip if OOB. offset
_buffer_load_b32 v230, v227, s[sgprSrdC:sgprSrdC+3], 0, offen offset:0,  sc0 sc1 // load C for beta calc
_v_add_lshl_u32 v227, v3, v4, 0x1                  // scaleToBpe: accumulate d0 lower and *= bpe into Cin addr
v_cndmask_b32 v227, -1, v227, s[56:57]             // LDD clip if OOB. offset
/* (d1,vc1,d0,vc0)=(3,1,3,0) */
s_mov_b32 s52, 192                                 // coordOffset0 d0=3 vc0=0
_v_add_co_u32 v4, vcc, v0, s52                     // coord0.2: coord0 += d0*sg0*VW + vc0
v_cmp_lt_u32 s[52:53], v4, s[sgprSizeI]            // coord0 < size0
v_cmp_lt_u32 s[56:57], v1, s[sgprSizeJ]            // coord1 < size1
s_and_b64 s[56:57], s[52:53], s[56:57]             // in0 && in1
_v_add_lshl_u32 v231, v2, v4, 0x1                  // scaleToBpe: accumulate d0 lower and *= bpe into Cin addr
v_cndmask_b32 v231, -1, v231, s[56:57]             // LDC clip if OOB. offset
_buffer_load_b32 v234, v231, s[sgprSrdC:sgprSrdC+3], 0, offen offset:0,  sc0 sc1 // load C for beta calc
_v_add_lshl_u32 v231, v3, v4, 0x1                  // scaleToBpe: accumulate d0 lower and *= bpe into Cin addr
v_cndmask_b32 v231, -1, v231, s[56:57]             // LDD clip if OOB. offset
/* (d1,vc1,d0,vc0)=(3,2,0,0) */
_v_add_co_u32 v1, vcc, v1, 1                       // coord1.1: coord1Vgpr += d1*sg1*VW + vc1

/* Fix for UseInitialStridesCD, emitAddressSetupCode */
_v_add_u32 v2, v2, s[sgprStrideC1J]                // ROWINC- Move cinRowPtr to next row
_v_add_u32 v3, v3, s[sgprStrideD1J]                // Move coutRowPtr to next row
v_cmp_lt_u32 s[52:53], v0, s[sgprSizeI]            // coord0 < size0
v_cmp_lt_u32 s[56:57], v1, s[sgprSizeJ]            // coord1 < size1
s_and_b64 s[56:57], s[52:53], s[56:57]             // in0 && in1
_v_add_lshl_u32 v235, v2, v0, 0x1                  // scaleToBpe: accumulate d0 lower and *= bpe into Cin addr
v_cndmask_b32 v235, -1, v235, s[56:57]             // LDC clip if OOB. offset
_buffer_load_b32 v238, v235, s[sgprSrdC:sgprSrdC+3], 0, offen offset:0,  sc0 sc1 // load C for beta calc
_v_add_lshl_u32 v235, v3, v0, 0x1                  // scaleToBpe: accumulate d0 lower and *= bpe into Cin addr
v_cndmask_b32 v235, -1, v235, s[56:57]             // LDD clip if OOB. offset
/* (d1,vc1,d0,vc0)=(3,2,1,0) */
_v_add_co_u32 v4, vcc, v0, 64                      // coord0.1: coord0 += d0*sg0*VW + vc0
v_cmp_lt_u32 s[52:53], v4, s[sgprSizeI]            // coord0 < size0
v_cmp_lt_u32 s[56:57], v1, s[sgprSizeJ]            // coord1 < size1
s_and_b64 s[56:57], s[52:53], s[56:57]             // in0 && in1
_v_add_lshl_u32 v239, v2, v4, 0x1                  // scaleToBpe: accumulate d0 lower and *= bpe into Cin addr
v_cndmask_b32 v239, -1, v239, s[56:57]             // LDC clip if OOB. offset
_buffer_load_b32 v242, v239, s[sgprSrdC:sgprSrdC+3], 0, offen offset:0,  sc0 sc1 // load C for beta calc
_v_add_lshl_u32 v239, v3, v4, 0x1                  // scaleToBpe: accumulate d0 lower and *= bpe into Cin addr
v_cndmask_b32 v239, -1, v239, s[56:57]             // LDD clip if OOB. offset
/* (d1,vc1,d0,vc0)=(3,2,2,0) */
s_mov_b32 s52, 128                                 // coordOffset0 d0=2 vc0=0
_v_add_co_u32 v4, vcc, v0, s52                     // coord0.2: coord0 += d0*sg0*VW + vc0
v_cmp_lt_u32 s[52:53], v4, s[sgprSizeI]            // coord0 < size0
v_cmp_lt_u32 s[56:57], v1, s[sgprSizeJ]            // coord1 < size1
s_and_b64 s[56:57], s[52:53], s[56:57]             // in0 && in1
_v_add_lshl_u32 v243, v2, v4, 0x1                  // scaleToBpe: accumulate d0 lower and *= bpe into Cin addr
v_cndmask_b32 v243, -1, v243, s[56:57]             // LDC clip if OOB. offset
_buffer_load_b32 v246, v243, s[sgprSrdC:sgprSrdC+3], 0, offen offset:0,  sc0 sc1 // load C for beta calc
_v_add_lshl_u32 v243, v3, v4, 0x1                  // scaleToBpe: accumulate d0 lower and *= bpe into Cin addr
v_cndmask_b32 v243, -1, v243, s[56:57]             // LDD clip if OOB. offset
/* (d1,vc1,d0,vc0)=(3,2,3,0) */
s_mov_b32 s52, 192                                 // coordOffset0 d0=3 vc0=0
_v_add_co_u32 v4, vcc, v0, s52                     // coord0.2: coord0 += d0*sg0*VW + vc0
v_cmp_lt_u32 s[52:53], v4, s[sgprSizeI]            // coord0 < size0
v_cmp_lt_u32 s[56:57], v1, s[sgprSizeJ]            // coord1 < size1
s_and_b64 s[56:57], s[52:53], s[56:57]             // in0 && in1
_v_add_lshl_u32 v247, v2, v4, 0x1                  // scaleToBpe: accumulate d0 lower and *= bpe into Cin addr
v_cndmask_b32 v247, -1, v247, s[56:57]             // LDC clip if OOB. offset
_buffer_load_b32 v250, v247, s[sgprSrdC:sgprSrdC+3], 0, offen offset:0,  sc0 sc1 // load C for beta calc
_v_add_lshl_u32 v247, v3, v4, 0x1                  // scaleToBpe: accumulate d0 lower and *= bpe into Cin addr
v_cndmask_b32 v247, -1, v247, s[56:57]             // LDD clip if OOB. offset
v_accvgpr_read_b32 v[vgprValuC+12], acc0 // copy acc to vreg[0]
v_accvgpr_read_b32 v[vgprValuC+13], acc4 // copy acc to vreg[1]
v_accvgpr_read_b32 v[vgprValuC+16], acc8 // copy acc to vreg[2]
v_accvgpr_read_b32 v[vgprValuC+17], acc12 // copy acc to vreg[3]
v_accvgpr_read_b32 v[vgprValuC+20], acc16 // copy acc to vreg[4]
v_accvgpr_read_b32 v[vgprValuC+21], acc20 // copy acc to vreg[5]
v_accvgpr_read_b32 v[vgprValuC+24], acc24 // copy acc to vreg[6]
v_accvgpr_read_b32 v[vgprValuC+25], acc28 // copy acc to vreg[7]
v_accvgpr_read_b32 v[vgprValuC+28], acc1 // copy acc to vreg[8]
v_accvgpr_read_b32 v[vgprValuC+29], acc5 // copy acc to vreg[9]
v_accvgpr_read_b32 v[vgprValuC+32], acc9 // copy acc to vreg[10]
v_accvgpr_read_b32 v[vgprValuC+33], acc13 // copy acc to vreg[11]
v_accvgpr_read_b32 v[vgprValuC+36], acc17 // copy acc to vreg[12]
v_accvgpr_read_b32 v[vgprValuC+37], acc21 // copy acc to vreg[13]
v_accvgpr_read_b32 v[vgprValuC+40], acc25 // copy acc to vreg[14]
v_accvgpr_read_b32 v[vgprValuC+41], acc29 // copy acc to vreg[15]
v_accvgpr_read_b32 v[vgprValuC+44], acc2 // copy acc to vreg[16]
v_accvgpr_read_b32 v[vgprValuC+45], acc6 // copy acc to vreg[17]
v_accvgpr_read_b32 v[vgprValuC+48], acc10 // copy acc to vreg[18]
v_accvgpr_read_b32 v[vgprValuC+49], acc14 // copy acc to vreg[19]
v_accvgpr_read_b32 v[vgprValuC+52], acc18 // copy acc to vreg[20]
v_accvgpr_read_b32 v[vgprValuC+53], acc22 // copy acc to vreg[21]
v_accvgpr_read_b32 v[vgprValuC+56], acc26 // copy acc to vreg[22]
v_accvgpr_read_b32 v[vgprValuC+57], acc30 // copy acc to vreg[23]
v_accvgpr_read_b32 v[vgprValuC+60], acc3 // copy acc to vreg[24]
v_accvgpr_read_b32 v[vgprValuC+61], acc7 // copy acc to vreg[25]
v_accvgpr_read_b32 v[vgprValuC+64], acc11 // copy acc to vreg[26]
v_accvgpr_read_b32 v[vgprValuC+65], acc15 // copy acc to vreg[27]
v_accvgpr_read_b32 v[vgprValuC+68], acc19 // copy acc to vreg[28]
v_accvgpr_read_b32 v[vgprValuC+69], acc23 // copy acc to vreg[29]
v_accvgpr_read_b32 v[vgprValuC+72], acc27 // copy acc to vreg[30]
v_accvgpr_read_b32 v[vgprValuC+73], acc31 // copy acc to vreg[31]
v_accvgpr_read_b32 v[vgprValuC+76], acc32 // copy acc to vreg[32]
v_accvgpr_read_b32 v[vgprValuC+77], acc36 // copy acc to vreg[33]
v_accvgpr_read_b32 v[vgprValuC+80], acc40 // copy acc to vreg[34]
v_accvgpr_read_b32 v[vgprValuC+81], acc44 // copy acc to vreg[35]
v_accvgpr_read_b32 v[vgprValuC+84], acc48 // copy acc to vreg[36]
v_accvgpr_read_b32 v[vgprValuC+85], acc52 // copy acc to vreg[37]
v_accvgpr_read_b32 v[vgprValuC+88], acc56 // copy acc to vreg[38]
v_accvgpr_read_b32 v[vgprValuC+89], acc60 // copy acc to vreg[39]
v_accvgpr_read_b32 v[vgprValuC+92], acc33 // copy acc to vreg[40]
v_accvgpr_read_b32 v[vgprValuC+93], acc37 // copy acc to vreg[41]
v_accvgpr_read_b32 v[vgprValuC+96], acc41 // copy acc to vreg[42]
v_accvgpr_read_b32 v[vgprValuC+97], acc45 // copy acc to vreg[43]
v_accvgpr_read_b32 v[vgprValuC+100], acc49 // copy acc to vreg[44]
v_accvgpr_read_b32 v[vgprValuC+101], acc53 // copy acc to vreg[45]
v_accvgpr_read_b32 v[vgprValuC+104], acc57 // copy acc to vreg[46]
v_accvgpr_read_b32 v[vgprValuC+105], acc61 // copy acc to vreg[47]
v_accvgpr_read_b32 v[vgprValuC+108], acc34 // copy acc to vreg[48]
v_accvgpr_read_b32 v[vgprValuC+109], acc38 // copy acc to vreg[49]
v_accvgpr_read_b32 v[vgprValuC+112], acc42 // copy acc to vreg[50]
v_accvgpr_read_b32 v[vgprValuC+113], acc46 // copy acc to vreg[51]
v_accvgpr_read_b32 v[vgprValuC+116], acc50 // copy acc to vreg[52]
v_accvgpr_read_b32 v[vgprValuC+117], acc54 // copy acc to vreg[53]
v_accvgpr_read_b32 v[vgprValuC+120], acc58 // copy acc to vreg[54]
v_accvgpr_read_b32 v[vgprValuC+121], acc62 // copy acc to vreg[55]
v_accvgpr_read_b32 v[vgprValuC+124], acc35 // copy acc to vreg[56]
v_accvgpr_read_b32 v[vgprValuC+125], acc39 // copy acc to vreg[57]
v_accvgpr_read_b32 v[vgprValuC+128], acc43 // copy acc to vreg[58]
v_accvgpr_read_b32 v[vgprValuC+129], acc47 // copy acc to vreg[59]
v_accvgpr_read_b32 v[vgprValuC+132], acc51 // copy acc to vreg[60]
v_accvgpr_read_b32 v[vgprValuC+133], acc55 // copy acc to vreg[61]
v_accvgpr_read_b32 v[vgprValuC+136], acc59 // copy acc to vreg[62]
v_accvgpr_read_b32 v[vgprValuC+137], acc63 // copy acc to vreg[63]
v_accvgpr_read_b32 v[vgprValuC+140], acc64 // copy acc to vreg[64]
v_accvgpr_read_b32 v[vgprValuC+141], acc68 // copy acc to vreg[65]
v_accvgpr_read_b32 v[vgprValuC+144], acc72 // copy acc to vreg[66]
v_accvgpr_read_b32 v[vgprValuC+145], acc76 // copy acc to vreg[67]
v_accvgpr_read_b32 v[vgprValuC+152], acc80 // copy acc to vreg[68]
v_accvgpr_read_b32 v[vgprValuC+153], acc84 // copy acc to vreg[69]
v_accvgpr_read_b32 v[vgprValuC+156], acc88 // copy acc to vreg[70]
v_accvgpr_read_b32 v[vgprValuC+157], acc92 // copy acc to vreg[71]
v_accvgpr_read_b32 v[vgprValuC+160], acc65 // copy acc to vreg[72]
v_accvgpr_read_b32 v[vgprValuC+161], acc69 // copy acc to vreg[73]
v_accvgpr_read_b32 v[vgprValuC+164], acc73 // copy acc to vreg[74]
v_accvgpr_read_b32 v[vgprValuC+165], acc77 // copy acc to vreg[75]
v_accvgpr_read_b32 v[vgprValuC+168], acc81 // copy acc to vreg[76]
v_accvgpr_read_b32 v[vgprValuC+169], acc85 // copy acc to vreg[77]
v_accvgpr_read_b32 v[vgprValuC+172], acc89 // copy acc to vreg[78]
v_accvgpr_read_b32 v[vgprValuC+173], acc93 // copy acc to vreg[79]
v_accvgpr_read_b32 v[vgprValuC+176], acc66 // copy acc to vreg[80]
v_accvgpr_read_b32 v[vgprValuC+177], acc70 // copy acc to vreg[81]
v_accvgpr_read_b32 v[vgprValuC+180], acc74 // copy acc to vreg[82]
v_accvgpr_read_b32 v[vgprValuC+181], acc78 // copy acc to vreg[83]
v_accvgpr_read_b32 v[vgprValuC+184], acc82 // copy acc to vreg[84]
v_accvgpr_read_b32 v[vgprValuC+185], acc86 // copy acc to vreg[85]
v_accvgpr_read_b32 v[vgprValuC+188], acc90 // copy acc to vreg[86]
v_accvgpr_read_b32 v[vgprValuC+189], acc94 // copy acc to vreg[87]
v_accvgpr_read_b32 v[vgprValuC+192], acc67 // copy acc to vreg[88]
v_accvgpr_read_b32 v[vgprValuC+193], acc71 // copy acc to vreg[89]
v_accvgpr_read_b32 v[vgprValuC+196], acc75 // copy acc to vreg[90]
v_accvgpr_read_b32 v[vgprValuC+197], acc79 // copy acc to vreg[91]
v_accvgpr_read_b32 v[vgprValuC+200], acc83 // copy acc to vreg[92]
v_accvgpr_read_b32 v[vgprValuC+201], acc87 // copy acc to vreg[93]
v_accvgpr_read_b32 v[vgprValuC+204], acc91 // copy acc to vreg[94]
v_accvgpr_read_b32 v[vgprValuC+205], acc95 // copy acc to vreg[95]
v_accvgpr_read_b32 v[vgprValuC+208], acc96 // copy acc to vreg[96]
v_accvgpr_read_b32 v[vgprValuC+209], acc100 // copy acc to vreg[97]
v_accvgpr_read_b32 v[vgprValuC+212], acc104 // copy acc to vreg[98]
v_accvgpr_read_b32 v[vgprValuC+213], acc108 // copy acc to vreg[99]
v_accvgpr_read_b32 v[vgprValuC+216], acc112 // copy acc to vreg[100]
v_accvgpr_read_b32 v[vgprValuC+217], acc116 // copy acc to vreg[101]
v_accvgpr_read_b32 v[vgprValuC+220], acc120 // copy acc to vreg[102]
v_accvgpr_read_b32 v[vgprValuC+221], acc124 // copy acc to vreg[103]
v_accvgpr_read_b32 v[vgprValuC+224], acc97 // copy acc to vreg[104]
v_accvgpr_read_b32 v[vgprValuC+225], acc101 // copy acc to vreg[105]
v_accvgpr_read_b32 v[vgprValuC+228], acc105 // copy acc to vreg[106]
v_accvgpr_read_b32 v[vgprValuC+229], acc109 // copy acc to vreg[107]
v_accvgpr_read_b32 v[vgprValuC+232], acc113 // copy acc to vreg[108]
v_accvgpr_read_b32 v[vgprValuC+233], acc117 // copy acc to vreg[109]
v_accvgpr_read_b32 v[vgprValuC+236], acc121 // copy acc to vreg[110]
v_accvgpr_read_b32 v[vgprValuC+237], acc125 // copy acc to vreg[111]
v_accvgpr_read_b32 v[vgprValuC+240], acc98 // copy acc to vreg[112]
v_accvgpr_read_b32 v[vgprValuC+241], acc102 // copy acc to vreg[113]
v_accvgpr_read_b32 v[vgprValuC+244], acc106 // copy acc to vreg[114]
v_accvgpr_read_b32 v[vgprValuC+245], acc110 // copy acc to vreg[115]
v_accvgpr_read_b32 v[vgprValuC+248], acc114 // copy acc to vreg[116]
v_accvgpr_read_b32 v[vgprValuC+249], acc118 // copy acc to vreg[117]
v_accvgpr_read_b32 v[vgprValuC+252], acc122 // copy acc to vreg[118]
v_accvgpr_read_b32 v[vgprValuC+253], acc126 // copy acc to vreg[119]
s_nop 1                                            // 2 wait states required before reading vgpr

/* rC *= alpha batchElements=[(0, 0, 0, 0), (0, 1, 0, 0), (0, 2, 0, 0), (0, 3, 0, 0), (0, 0, 1, 0), (0, 1, 1, 0), (0, 2, 1, 0), (0, 3, 1, 0), (0, 0, 2, 0), (0, 1, 2, 0), (0, 2, 2, 0), (0, 3, 2, 0), (0, 0, 3, 0), (0, 1, 3, 0), (0, 2, 3, 0), (0, 3, 3, 0), (1, 0, 0, 0), (1, 1, 0, 0), (1, 2, 0, 0), (1, 3, 0, 0), (1, 0, 1, 0), (1, 1, 1, 0), (1, 2, 1, 0), (1, 3, 1, 0), (1, 0, 2, 0), (1, 1, 2, 0), (1, 2, 2, 0), (1, 3, 2, 0), (1, 0, 3, 0), (1, 1, 3, 0), (1, 2, 3, 0), (1, 3, 3, 0), (2, 0, 0, 0), (2, 1, 0, 0), (2, 2, 0, 0), (2, 3, 0, 0), (2, 0, 1, 0), (2, 1, 1, 0), (2, 2, 1, 0), (2, 3, 1, 0), (2, 0, 2, 0), (2, 1, 2, 0), (2, 2, 2, 0), (2, 3, 2, 0), (2, 0, 3, 0), (2, 1, 3, 0), (2, 2, 3, 0), (2, 3, 3, 0), (3, 0, 0, 0), (3, 1, 0, 0), (3, 2, 0, 0), (3, 3, 0, 0), (3, 0, 1, 0), (3, 1, 1, 0), (3, 2, 1, 0), (3, 3, 1, 0), (3, 0, 2, 0), (3, 1, 2, 0), (3, 2, 2, 0), (3, 3, 2, 0)] */
v_mul_f32 v[vgprValuC+12], s[sgprAlpha], v[vgprValuC+12] // *= alpha
v_mul_f32 v[vgprValuC+13], s[sgprAlpha], v[vgprValuC+13] // *= alpha
	;; [unrolled: 1-line block ×120, first 2 shown]
s_waitcnt vmcnt(0)                                 // wait C

/* apply mask, calc new C and issue writes */
v_mov_b32 v7, 0xffff0000                           // mask for pack two bfloat16 element to 32bit
v_mov_b32 v8, 0x7fff0000                           // fp32 Nan
v_mov_b32 v9, 0x7fff                               // rounding bias for bfloat16
v_lshlrev_b32 v4, 16, v11                          // convert bf16 to fp32
_v_mac_f32 v[vgprValuC+12], v4, s[sgprBeta]        // finalSum = sum*alpha + C*beta
v_and_b32 v4, v11, v7                              // convert bf16 to fp32
_v_mac_f32 v[vgprValuC+13], v4, s[sgprBeta]        // finalSum = sum*alpha + C*beta
v_cmp_u_f32 s[52:53], v[vgprValuC+12], v[vgprValuC+12] // check Nan
v_bfe_u32 v6, v[vgprValuC+12], 16, 1               // Non-Nan case: store lsb of bf16
v_add3_u32 v6, v[vgprValuC+12], v6, v9             // Non-Nan case: add lsb and the increment for rounding
v_cndmask_b32 v[vgprValuC+12], v6, v8, s[52:53]    // 
v_lshrrev_b32 v[vgprValuC+12], 16, v[vgprValuC+12] // convert C to bf16
v_cmp_u_f32 s[52:53], v[vgprValuC+13], v[vgprValuC+13] // check Nan
v_bfe_u32 v6, v[vgprValuC+13], 16, 1               // Non-Nan case: store lsb of bf16
v_add3_u32 v6, v[vgprValuC+13], v6, v9             // Non-Nan case: add lsb and the increment for rounding
v_cndmask_b32 v[vgprValuC+13], v6, v8, s[52:53]    // 
v_and_or_b32 v12, v[vgprValuC+13], v7, v[vgprValuC+12] // pack two bf16 to dword
_buffer_store_b32 v12, v10, s[sgprSrdD:sgprSrdD+3], 0, offen, offset:0,  sc0 sc1 // store D
v_lshlrev_b32 v4, 16, v15                          // convert bf16 to fp32
_v_mac_f32 v[vgprValuC+16], v4, s[sgprBeta]        // finalSum = sum*alpha + C*beta
v_and_b32 v4, v15, v7                              // convert bf16 to fp32
_v_mac_f32 v[vgprValuC+17], v4, s[sgprBeta]        // finalSum = sum*alpha + C*beta
v_cmp_u_f32 s[52:53], v[vgprValuC+16], v[vgprValuC+16] // check Nan
v_bfe_u32 v6, v[vgprValuC+16], 16, 1               // Non-Nan case: store lsb of bf16
v_add3_u32 v6, v[vgprValuC+16], v6, v9             // Non-Nan case: add lsb and the increment for rounding
v_cndmask_b32 v[vgprValuC+16], v6, v8, s[52:53]    // 
v_lshrrev_b32 v[vgprValuC+16], 16, v[vgprValuC+16] // convert C to bf16
v_cmp_u_f32 s[52:53], v[vgprValuC+17], v[vgprValuC+17] // check Nan
v_bfe_u32 v6, v[vgprValuC+17], 16, 1               // Non-Nan case: store lsb of bf16
v_add3_u32 v6, v[vgprValuC+17], v6, v9             // Non-Nan case: add lsb and the increment for rounding
v_cndmask_b32 v[vgprValuC+17], v6, v8, s[52:53]    // 
v_and_or_b32 v16, v[vgprValuC+17], v7, v[vgprValuC+16] // pack two bf16 to dword
_buffer_store_b32 v16, v14, s[sgprSrdD:sgprSrdD+3], 0, offen, offset:0,  sc0 sc1 // store D
	;; [unrolled: 15-line block ×22, first 2 shown]
v_lshlrev_b32 v4, 16, v99                          // convert bf16 to fp32
_v_mac_f32 v[vgprValuC+100], v4, s[sgprBeta]       // finalSum = sum*alpha + C*beta
v_and_b32 v4, v99, v7                              // convert bf16 to fp32
_v_mac_f32 v[vgprValuC+101], v4, s[sgprBeta]       // finalSum = sum*alpha + C*beta
v_cmp_u_f32 s[52:53], v[vgprValuC+100], v[vgprValuC+100] // check Nan
v_bfe_u32 v6, v[vgprValuC+100], 16, 1              // Non-Nan case: store lsb of bf16
v_add3_u32 v6, v[vgprValuC+100], v6, v9            // Non-Nan case: add lsb and the increment for rounding
v_cndmask_b32 v[vgprValuC+100], v6, v8, s[52:53]   // 
v_lshrrev_b32 v[vgprValuC+100], 16, v[vgprValuC+100] // convert C to bf16
v_cmp_u_f32 s[52:53], v[vgprValuC+101], v[vgprValuC+101] // check Nan
v_bfe_u32 v6, v[vgprValuC+101], 16, 1              // Non-Nan case: store lsb of bf16
v_add3_u32 v6, v[vgprValuC+101], v6, v9            // Non-Nan case: add lsb and the increment for rounding
v_cndmask_b32 v[vgprValuC+101], v6, v8, s[52:53]   // 
v_and_or_b32 v100, v[vgprValuC+101], v7, v[vgprValuC+100] // pack two bf16 to dword
_buffer_store_b32 v100, v98, s[sgprSrdD:sgprSrdD+3], 0, offen, offset:0,  sc0 sc1 // store D
v_lshlrev_b32 v4, 16, v103                         // convert bf16 to fp32
_v_mac_f32 v[vgprValuC+104], v4, s[sgprBeta]       // finalSum = sum*alpha + C*beta
v_and_b32 v4, v103, v7                             // convert bf16 to fp32
_v_mac_f32 v[vgprValuC+105], v4, s[sgprBeta]       // finalSum = sum*alpha + C*beta
v_cmp_u_f32 s[52:53], v[vgprValuC+104], v[vgprValuC+104] // check Nan
v_bfe_u32 v6, v[vgprValuC+104], 16, 1              // Non-Nan case: store lsb of bf16
v_add3_u32 v6, v[vgprValuC+104], v6, v9            // Non-Nan case: add lsb and the increment for rounding
v_cndmask_b32 v[vgprValuC+104], v6, v8, s[52:53]   // 
v_lshrrev_b32 v[vgprValuC+104], 16, v[vgprValuC+104] // convert C to bf16
v_cmp_u_f32 s[52:53], v[vgprValuC+105], v[vgprValuC+105] // check Nan
v_bfe_u32 v6, v[vgprValuC+105], 16, 1              // Non-Nan case: store lsb of bf16
v_add3_u32 v6, v[vgprValuC+105], v6, v9            // Non-Nan case: add lsb and the increment for rounding
v_cndmask_b32 v[vgprValuC+105], v6, v8, s[52:53]   // 
v_and_or_b32 v104, v[vgprValuC+105], v7, v[vgprValuC+104] // pack two bf16 to dword
_buffer_store_b32 v104, v102, s[sgprSrdD:sgprSrdD+3], 0, offen, offset:0,  sc0 sc1 // store D
v_lshlrev_b32 v4, 16, v107                         // convert bf16 to fp32
_v_mac_f32 v[vgprValuC+108], v4, s[sgprBeta]       // finalSum = sum*alpha + C*beta
v_and_b32 v4, v107, v7                             // convert bf16 to fp32
	;; [unrolled: 15-line block ×37, first 2 shown]
_v_mac_f32 v[vgprValuC+253], v4, s[sgprBeta]       // finalSum = sum*alpha + C*beta
v_cmp_u_f32 s[52:53], v[vgprValuC+252], v[vgprValuC+252] // check Nan
v_bfe_u32 v6, v[vgprValuC+252], 16, 1              // Non-Nan case: store lsb of bf16
v_add3_u32 v6, v[vgprValuC+252], v6, v9            // Non-Nan case: add lsb and the increment for rounding
v_cndmask_b32 v[vgprValuC+252], v6, v8, s[52:53]   // 
v_lshrrev_b32 v[vgprValuC+252], 16, v[vgprValuC+252] // convert C to bf16
v_cmp_u_f32 s[52:53], v[vgprValuC+253], v[vgprValuC+253] // check Nan
v_bfe_u32 v6, v[vgprValuC+253], 16, 1              // Non-Nan case: store lsb of bf16
v_add3_u32 v6, v[vgprValuC+253], v6, v9            // Non-Nan case: add lsb and the increment for rounding
v_cndmask_b32 v[vgprValuC+253], v6, v8, s[52:53]   // 
v_and_or_b32 v252, v[vgprValuC+253], v7, v[vgprValuC+252] // pack two bf16 to dword
_buffer_store_b32 v252, v247, s[sgprSrdD:sgprSrdD+3], 0, offen, offset:0,  sc0 sc1 // store D
s_nop 0                                            // 1 wait state required when next inst writes vgprs held by previous dwordx4 store inst
/* optSingleColVgpr=0 optSharedColVgpr=0 optSGPRUsage=BufferLoad_Edge_Mask optSrdIncForRow=0 */

/******************************************/
/* Global Write Alpha Beta Edge Batch #1 (d1,d0,vc1,vc0) = */
/*    (3,0,3,0:vw2); (3,1,3,0:vw2); (3,2,3,0:vw2); (3,3,3,0:vw2); (4,0,0,0:vw2); (4,1,0,0:vw2); (4,2,0,0:vw2); (4,3,0,0:vw2); (4,0,1,0:vw2); (4,1,1,0:vw2); (4,2,1,0:vw2); (4,3,1,0:vw2); (4,0,2,0:vw2); (4,1,2,0:vw2); (4,2,2,0:vw2); (4,3,2,0:vw2); (4,0,3,0:vw2); (4,1,3,0:vw2); (4,2,3,0:vw2); (4,3,3,0:vw2); (5,0,0,0:vw2); (5,1,0,0:vw2); (5,2,0,0:vw2); (5,3,0,0:vw2); (5,0,1,0:vw2); (5,1,1,0:vw2); (5,2,1,0:vw2); (5,3,1,0:vw2); (5,0,2,0:vw2); (5,1,2,0:vw2); (5,2,2,0:vw2); (5,3,2,0:vw2); (5,0,3,0:vw2); (5,1,3,0:vw2); (5,2,3,0:vw2); (5,3,3,0:vw2); (6,0,0,0:vw2); (6,1,0,0:vw2); (6,2,0,0:vw2); (6,3,0,0:vw2); (6,0,1,0:vw2); (6,1,1,0:vw2); (6,2,1,0:vw2); (6,3,1,0:vw2); (6,0,2,0:vw2); (6,1,2,0:vw2); (6,2,2,0:vw2); (6,3,2,0:vw2); (6,0,3,0:vw2); (6,1,3,0:vw2); (6,2,3,0:vw2); (6,3,3,0:vw2); (7,0,0,0:vw2); (7,1,0,0:vw2); (7,2,0,0:vw2); (7,3,0,0:vw2); (7,0,1,0:vw2); (7,1,1,0:vw2); (7,2,1,0:vw2); (7,3,1,0:vw2) */
/******************************************/

/* calc coords, apply mask, and issue loads (if necessary) */
/* (d1,vc1,d0,vc0)=(3,3,0,0) */
_v_add_co_u32 v1, vcc, v1, 1                       // coord1.1: coord1Vgpr += d1*sg1*VW + vc1

/* Fix for UseInitialStridesCD, emitAddressSetupCode */
_v_add_u32 v2, v2, s[sgprStrideC1J]                // ROWINC- Move cinRowPtr to next row
_v_add_u32 v3, v3, s[sgprStrideD1J]                // Move coutRowPtr to next row
v_cmp_lt_u32 s[52:53], v0, s[sgprSizeI]            // coord0 < size0
v_cmp_lt_u32 s[56:57], v1, s[sgprSizeJ]            // coord1 < size1
s_and_b64 s[56:57], s[52:53], s[56:57]             // in0 && in1
_v_add_lshl_u32 v10, v2, v0, 0x1                   // scaleToBpe: accumulate d0 lower and *= bpe into Cin addr
v_cndmask_b32 v10, -1, v10, s[56:57]               // LDC clip if OOB. offset
_buffer_load_b32 v11, v10, s[sgprSrdC:sgprSrdC+3], 0, offen offset:0,  sc0 sc1 // load C for beta calc
_v_add_lshl_u32 v10, v3, v0, 0x1                   // scaleToBpe: accumulate d0 lower and *= bpe into Cin addr
v_cndmask_b32 v10, -1, v10, s[56:57]               // LDD clip if OOB. offset
/* (d1,vc1,d0,vc0)=(3,3,1,0) */
_v_add_co_u32 v4, vcc, v0, 64                      // coord0.1: coord0 += d0*sg0*VW + vc0
v_cmp_lt_u32 s[52:53], v4, s[sgprSizeI]            // coord0 < size0
v_cmp_lt_u32 s[56:57], v1, s[sgprSizeJ]            // coord1 < size1
s_and_b64 s[56:57], s[52:53], s[56:57]             // in0 && in1
_v_add_lshl_u32 v14, v2, v4, 0x1                   // scaleToBpe: accumulate d0 lower and *= bpe into Cin addr
v_cndmask_b32 v14, -1, v14, s[56:57]               // LDC clip if OOB. offset
_buffer_load_b32 v15, v14, s[sgprSrdC:sgprSrdC+3], 0, offen offset:0,  sc0 sc1 // load C for beta calc
_v_add_lshl_u32 v14, v3, v4, 0x1                   // scaleToBpe: accumulate d0 lower and *= bpe into Cin addr
v_cndmask_b32 v14, -1, v14, s[56:57]               // LDD clip if OOB. offset
/* (d1,vc1,d0,vc0)=(3,3,2,0) */
s_mov_b32 s52, 128                                 // coordOffset0 d0=2 vc0=0
_v_add_co_u32 v4, vcc, v0, s52                     // coord0.2: coord0 += d0*sg0*VW + vc0
v_cmp_lt_u32 s[52:53], v4, s[sgprSizeI]            // coord0 < size0
v_cmp_lt_u32 s[56:57], v1, s[sgprSizeJ]            // coord1 < size1
s_and_b64 s[56:57], s[52:53], s[56:57]             // in0 && in1
_v_add_lshl_u32 v18, v2, v4, 0x1                   // scaleToBpe: accumulate d0 lower and *= bpe into Cin addr
v_cndmask_b32 v18, -1, v18, s[56:57]               // LDC clip if OOB. offset
_buffer_load_b32 v19, v18, s[sgprSrdC:sgprSrdC+3], 0, offen offset:0,  sc0 sc1 // load C for beta calc
_v_add_lshl_u32 v18, v3, v4, 0x1                   // scaleToBpe: accumulate d0 lower and *= bpe into Cin addr
v_cndmask_b32 v18, -1, v18, s[56:57]               // LDD clip if OOB. offset
/* (d1,vc1,d0,vc0)=(3,3,3,0) */
s_mov_b32 s52, 192                                 // coordOffset0 d0=3 vc0=0
_v_add_co_u32 v4, vcc, v0, s52                     // coord0.2: coord0 += d0*sg0*VW + vc0
v_cmp_lt_u32 s[52:53], v4, s[sgprSizeI]            // coord0 < size0
v_cmp_lt_u32 s[56:57], v1, s[sgprSizeJ]            // coord1 < size1
s_and_b64 s[56:57], s[52:53], s[56:57]             // in0 && in1
_v_add_lshl_u32 v22, v2, v4, 0x1                   // scaleToBpe: accumulate d0 lower and *= bpe into Cin addr
v_cndmask_b32 v22, -1, v22, s[56:57]               // LDC clip if OOB. offset
_buffer_load_b32 v23, v22, s[sgprSrdC:sgprSrdC+3], 0, offen offset:0,  sc0 sc1 // load C for beta calc
_v_add_lshl_u32 v22, v3, v4, 0x1                   // scaleToBpe: accumulate d0 lower and *= bpe into Cin addr
v_cndmask_b32 v22, -1, v22, s[56:57]               // LDD clip if OOB. offset
/* (d1,vc1,d0,vc0)=(4,0,0,0) */
_v_add_co_u32 v1, vcc, v1, 29                      // coord1.1: coord1Vgpr += d1*sg1*VW + vc1

/* Fix for UseInitialStridesCD, emitAddressSetupCode */
s_mul_i32 s52, s[sgprStrideC1J], 29                // scale stride
_v_add_u32 v2, v2, s52                             // ROWINC- Move cinRowPtr to next row
s_mul_i32 s52, s[sgprStrideD1J], 29                // scale stride
_v_add_u32 v3, v3, s52                             // Move coutRowPtr to next row
v_cmp_lt_u32 s[52:53], v0, s[sgprSizeI]            // coord0 < size0
v_cmp_lt_u32 s[56:57], v1, s[sgprSizeJ]            // coord1 < size1
s_and_b64 s[56:57], s[52:53], s[56:57]             // in0 && in1
_v_add_lshl_u32 v26, v2, v0, 0x1                   // scaleToBpe: accumulate d0 lower and *= bpe into Cin addr
v_cndmask_b32 v26, -1, v26, s[56:57]               // LDC clip if OOB. offset
_buffer_load_b32 v27, v26, s[sgprSrdC:sgprSrdC+3], 0, offen offset:0,  sc0 sc1 // load C for beta calc
_v_add_lshl_u32 v26, v3, v0, 0x1                   // scaleToBpe: accumulate d0 lower and *= bpe into Cin addr
v_cndmask_b32 v26, -1, v26, s[56:57]               // LDD clip if OOB. offset
/* (d1,vc1,d0,vc0)=(4,0,1,0) */
_v_add_co_u32 v4, vcc, v0, 64                      // coord0.1: coord0 += d0*sg0*VW + vc0
v_cmp_lt_u32 s[52:53], v4, s[sgprSizeI]            // coord0 < size0
v_cmp_lt_u32 s[56:57], v1, s[sgprSizeJ]            // coord1 < size1
s_and_b64 s[56:57], s[52:53], s[56:57]             // in0 && in1
_v_add_lshl_u32 v30, v2, v4, 0x1                   // scaleToBpe: accumulate d0 lower and *= bpe into Cin addr
v_cndmask_b32 v30, -1, v30, s[56:57]               // LDC clip if OOB. offset
_buffer_load_b32 v31, v30, s[sgprSrdC:sgprSrdC+3], 0, offen offset:0,  sc0 sc1 // load C for beta calc
_v_add_lshl_u32 v30, v3, v4, 0x1                   // scaleToBpe: accumulate d0 lower and *= bpe into Cin addr
v_cndmask_b32 v30, -1, v30, s[56:57]               // LDD clip if OOB. offset
/* (d1,vc1,d0,vc0)=(4,0,2,0) */
s_mov_b32 s52, 128                                 // coordOffset0 d0=2 vc0=0
_v_add_co_u32 v4, vcc, v0, s52                     // coord0.2: coord0 += d0*sg0*VW + vc0
v_cmp_lt_u32 s[52:53], v4, s[sgprSizeI]            // coord0 < size0
v_cmp_lt_u32 s[56:57], v1, s[sgprSizeJ]            // coord1 < size1
s_and_b64 s[56:57], s[52:53], s[56:57]             // in0 && in1
_v_add_lshl_u32 v34, v2, v4, 0x1                   // scaleToBpe: accumulate d0 lower and *= bpe into Cin addr
v_cndmask_b32 v34, -1, v34, s[56:57]               // LDC clip if OOB. offset
_buffer_load_b32 v35, v34, s[sgprSrdC:sgprSrdC+3], 0, offen offset:0,  sc0 sc1 // load C for beta calc
_v_add_lshl_u32 v34, v3, v4, 0x1                   // scaleToBpe: accumulate d0 lower and *= bpe into Cin addr
v_cndmask_b32 v34, -1, v34, s[56:57]               // LDD clip if OOB. offset
/* (d1,vc1,d0,vc0)=(4,0,3,0) */
s_mov_b32 s52, 192                                 // coordOffset0 d0=3 vc0=0
_v_add_co_u32 v4, vcc, v0, s52                     // coord0.2: coord0 += d0*sg0*VW + vc0
v_cmp_lt_u32 s[52:53], v4, s[sgprSizeI]            // coord0 < size0
v_cmp_lt_u32 s[56:57], v1, s[sgprSizeJ]            // coord1 < size1
s_and_b64 s[56:57], s[52:53], s[56:57]             // in0 && in1
_v_add_lshl_u32 v38, v2, v4, 0x1                   // scaleToBpe: accumulate d0 lower and *= bpe into Cin addr
v_cndmask_b32 v38, -1, v38, s[56:57]               // LDC clip if OOB. offset
_buffer_load_b32 v39, v38, s[sgprSrdC:sgprSrdC+3], 0, offen offset:0,  sc0 sc1 // load C for beta calc
_v_add_lshl_u32 v38, v3, v4, 0x1                   // scaleToBpe: accumulate d0 lower and *= bpe into Cin addr
v_cndmask_b32 v38, -1, v38, s[56:57]               // LDD clip if OOB. offset
/* (d1,vc1,d0,vc0)=(4,1,0,0) */
_v_add_co_u32 v1, vcc, v1, 1                       // coord1.1: coord1Vgpr += d1*sg1*VW + vc1

/* Fix for UseInitialStridesCD, emitAddressSetupCode */
_v_add_u32 v2, v2, s[sgprStrideC1J]                // ROWINC- Move cinRowPtr to next row
_v_add_u32 v3, v3, s[sgprStrideD1J]                // Move coutRowPtr to next row
v_cmp_lt_u32 s[52:53], v0, s[sgprSizeI]            // coord0 < size0
v_cmp_lt_u32 s[56:57], v1, s[sgprSizeJ]            // coord1 < size1
s_and_b64 s[56:57], s[52:53], s[56:57]             // in0 && in1
_v_add_lshl_u32 v42, v2, v0, 0x1                   // scaleToBpe: accumulate d0 lower and *= bpe into Cin addr
v_cndmask_b32 v42, -1, v42, s[56:57]               // LDC clip if OOB. offset
_buffer_load_b32 v43, v42, s[sgprSrdC:sgprSrdC+3], 0, offen offset:0,  sc0 sc1 // load C for beta calc
_v_add_lshl_u32 v42, v3, v0, 0x1                   // scaleToBpe: accumulate d0 lower and *= bpe into Cin addr
v_cndmask_b32 v42, -1, v42, s[56:57]               // LDD clip if OOB. offset
/* (d1,vc1,d0,vc0)=(4,1,1,0) */
_v_add_co_u32 v4, vcc, v0, 64                      // coord0.1: coord0 += d0*sg0*VW + vc0
v_cmp_lt_u32 s[52:53], v4, s[sgprSizeI]            // coord0 < size0
v_cmp_lt_u32 s[56:57], v1, s[sgprSizeJ]            // coord1 < size1
s_and_b64 s[56:57], s[52:53], s[56:57]             // in0 && in1
_v_add_lshl_u32 v46, v2, v4, 0x1                   // scaleToBpe: accumulate d0 lower and *= bpe into Cin addr
v_cndmask_b32 v46, -1, v46, s[56:57]               // LDC clip if OOB. offset
_buffer_load_b32 v47, v46, s[sgprSrdC:sgprSrdC+3], 0, offen offset:0,  sc0 sc1 // load C for beta calc
_v_add_lshl_u32 v46, v3, v4, 0x1                   // scaleToBpe: accumulate d0 lower and *= bpe into Cin addr
v_cndmask_b32 v46, -1, v46, s[56:57]               // LDD clip if OOB. offset
/* (d1,vc1,d0,vc0)=(4,1,2,0) */
s_mov_b32 s52, 128                                 // coordOffset0 d0=2 vc0=0
_v_add_co_u32 v4, vcc, v0, s52                     // coord0.2: coord0 += d0*sg0*VW + vc0
v_cmp_lt_u32 s[52:53], v4, s[sgprSizeI]            // coord0 < size0
v_cmp_lt_u32 s[56:57], v1, s[sgprSizeJ]            // coord1 < size1
s_and_b64 s[56:57], s[52:53], s[56:57]             // in0 && in1
_v_add_lshl_u32 v50, v2, v4, 0x1                   // scaleToBpe: accumulate d0 lower and *= bpe into Cin addr
v_cndmask_b32 v50, -1, v50, s[56:57]               // LDC clip if OOB. offset
_buffer_load_b32 v51, v50, s[sgprSrdC:sgprSrdC+3], 0, offen offset:0,  sc0 sc1 // load C for beta calc
_v_add_lshl_u32 v50, v3, v4, 0x1                   // scaleToBpe: accumulate d0 lower and *= bpe into Cin addr
v_cndmask_b32 v50, -1, v50, s[56:57]               // LDD clip if OOB. offset
/* (d1,vc1,d0,vc0)=(4,1,3,0) */
s_mov_b32 s52, 192                                 // coordOffset0 d0=3 vc0=0
_v_add_co_u32 v4, vcc, v0, s52                     // coord0.2: coord0 += d0*sg0*VW + vc0
v_cmp_lt_u32 s[52:53], v4, s[sgprSizeI]            // coord0 < size0
v_cmp_lt_u32 s[56:57], v1, s[sgprSizeJ]            // coord1 < size1
s_and_b64 s[56:57], s[52:53], s[56:57]             // in0 && in1
_v_add_lshl_u32 v54, v2, v4, 0x1                   // scaleToBpe: accumulate d0 lower and *= bpe into Cin addr
v_cndmask_b32 v54, -1, v54, s[56:57]               // LDC clip if OOB. offset
_buffer_load_b32 v55, v54, s[sgprSrdC:sgprSrdC+3], 0, offen offset:0,  sc0 sc1 // load C for beta calc
_v_add_lshl_u32 v54, v3, v4, 0x1                   // scaleToBpe: accumulate d0 lower and *= bpe into Cin addr
v_cndmask_b32 v54, -1, v54, s[56:57]               // LDD clip if OOB. offset
/* (d1,vc1,d0,vc0)=(4,2,0,0) */
_v_add_co_u32 v1, vcc, v1, 1                       // coord1.1: coord1Vgpr += d1*sg1*VW + vc1

/* Fix for UseInitialStridesCD, emitAddressSetupCode */
_v_add_u32 v2, v2, s[sgprStrideC1J]                // ROWINC- Move cinRowPtr to next row
_v_add_u32 v3, v3, s[sgprStrideD1J]                // Move coutRowPtr to next row
	;; [unrolled: 46-line block ×3, first 2 shown]
v_cmp_lt_u32 s[52:53], v0, s[sgprSizeI]            // coord0 < size0
v_cmp_lt_u32 s[56:57], v1, s[sgprSizeJ]            // coord1 < size1
s_and_b64 s[56:57], s[52:53], s[56:57]             // in0 && in1
_v_add_lshl_u32 v74, v2, v0, 0x1                   // scaleToBpe: accumulate d0 lower and *= bpe into Cin addr
v_cndmask_b32 v74, -1, v74, s[56:57]               // LDC clip if OOB. offset
_buffer_load_b32 v75, v74, s[sgprSrdC:sgprSrdC+3], 0, offen offset:0,  sc0 sc1 // load C for beta calc
_v_add_lshl_u32 v74, v3, v0, 0x1                   // scaleToBpe: accumulate d0 lower and *= bpe into Cin addr
v_cndmask_b32 v74, -1, v74, s[56:57]               // LDD clip if OOB. offset
/* (d1,vc1,d0,vc0)=(4,3,1,0) */
_v_add_co_u32 v4, vcc, v0, 64                      // coord0.1: coord0 += d0*sg0*VW + vc0
v_cmp_lt_u32 s[52:53], v4, s[sgprSizeI]            // coord0 < size0
v_cmp_lt_u32 s[56:57], v1, s[sgprSizeJ]            // coord1 < size1
s_and_b64 s[56:57], s[52:53], s[56:57]             // in0 && in1
_v_add_lshl_u32 v78, v2, v4, 0x1                   // scaleToBpe: accumulate d0 lower and *= bpe into Cin addr
v_cndmask_b32 v78, -1, v78, s[56:57]               // LDC clip if OOB. offset
_buffer_load_b32 v79, v78, s[sgprSrdC:sgprSrdC+3], 0, offen offset:0,  sc0 sc1 // load C for beta calc
_v_add_lshl_u32 v78, v3, v4, 0x1                   // scaleToBpe: accumulate d0 lower and *= bpe into Cin addr
v_cndmask_b32 v78, -1, v78, s[56:57]               // LDD clip if OOB. offset
/* (d1,vc1,d0,vc0)=(4,3,2,0) */
s_mov_b32 s52, 128                                 // coordOffset0 d0=2 vc0=0
_v_add_co_u32 v4, vcc, v0, s52                     // coord0.2: coord0 += d0*sg0*VW + vc0
v_cmp_lt_u32 s[52:53], v4, s[sgprSizeI]            // coord0 < size0
v_cmp_lt_u32 s[56:57], v1, s[sgprSizeJ]            // coord1 < size1
s_and_b64 s[56:57], s[52:53], s[56:57]             // in0 && in1
_v_add_lshl_u32 v82, v2, v4, 0x1                   // scaleToBpe: accumulate d0 lower and *= bpe into Cin addr
v_cndmask_b32 v82, -1, v82, s[56:57]               // LDC clip if OOB. offset
_buffer_load_b32 v83, v82, s[sgprSrdC:sgprSrdC+3], 0, offen offset:0,  sc0 sc1 // load C for beta calc
_v_add_lshl_u32 v82, v3, v4, 0x1                   // scaleToBpe: accumulate d0 lower and *= bpe into Cin addr
v_cndmask_b32 v82, -1, v82, s[56:57]               // LDD clip if OOB. offset
/* (d1,vc1,d0,vc0)=(4,3,3,0) */
s_mov_b32 s52, 192                                 // coordOffset0 d0=3 vc0=0
_v_add_co_u32 v4, vcc, v0, s52                     // coord0.2: coord0 += d0*sg0*VW + vc0
v_cmp_lt_u32 s[52:53], v4, s[sgprSizeI]            // coord0 < size0
v_cmp_lt_u32 s[56:57], v1, s[sgprSizeJ]            // coord1 < size1
s_and_b64 s[56:57], s[52:53], s[56:57]             // in0 && in1
_v_add_lshl_u32 v86, v2, v4, 0x1                   // scaleToBpe: accumulate d0 lower and *= bpe into Cin addr
v_cndmask_b32 v86, -1, v86, s[56:57]               // LDC clip if OOB. offset
_buffer_load_b32 v87, v86, s[sgprSrdC:sgprSrdC+3], 0, offen offset:0,  sc0 sc1 // load C for beta calc
_v_add_lshl_u32 v86, v3, v4, 0x1                   // scaleToBpe: accumulate d0 lower and *= bpe into Cin addr
v_cndmask_b32 v86, -1, v86, s[56:57]               // LDD clip if OOB. offset
/* (d1,vc1,d0,vc0)=(5,0,0,0) */
_v_add_co_u32 v1, vcc, v1, 29                      // coord1.1: coord1Vgpr += d1*sg1*VW + vc1

/* Fix for UseInitialStridesCD, emitAddressSetupCode */
s_mul_i32 s52, s[sgprStrideC1J], 29                // scale stride
_v_add_u32 v2, v2, s52                             // ROWINC- Move cinRowPtr to next row
s_mul_i32 s52, s[sgprStrideD1J], 29                // scale stride
_v_add_u32 v3, v3, s52                             // Move coutRowPtr to next row
v_cmp_lt_u32 s[52:53], v0, s[sgprSizeI]            // coord0 < size0
v_cmp_lt_u32 s[56:57], v1, s[sgprSizeJ]            // coord1 < size1
s_and_b64 s[56:57], s[52:53], s[56:57]             // in0 && in1
_v_add_lshl_u32 v90, v2, v0, 0x1                   // scaleToBpe: accumulate d0 lower and *= bpe into Cin addr
v_cndmask_b32 v90, -1, v90, s[56:57]               // LDC clip if OOB. offset
_buffer_load_b32 v91, v90, s[sgprSrdC:sgprSrdC+3], 0, offen offset:0,  sc0 sc1 // load C for beta calc
_v_add_lshl_u32 v90, v3, v0, 0x1                   // scaleToBpe: accumulate d0 lower and *= bpe into Cin addr
v_cndmask_b32 v90, -1, v90, s[56:57]               // LDD clip if OOB. offset
/* (d1,vc1,d0,vc0)=(5,0,1,0) */
_v_add_co_u32 v4, vcc, v0, 64                      // coord0.1: coord0 += d0*sg0*VW + vc0
v_cmp_lt_u32 s[52:53], v4, s[sgprSizeI]            // coord0 < size0
v_cmp_lt_u32 s[56:57], v1, s[sgprSizeJ]            // coord1 < size1
s_and_b64 s[56:57], s[52:53], s[56:57]             // in0 && in1
_v_add_lshl_u32 v94, v2, v4, 0x1                   // scaleToBpe: accumulate d0 lower and *= bpe into Cin addr
v_cndmask_b32 v94, -1, v94, s[56:57]               // LDC clip if OOB. offset
_buffer_load_b32 v95, v94, s[sgprSrdC:sgprSrdC+3], 0, offen offset:0,  sc0 sc1 // load C for beta calc
_v_add_lshl_u32 v94, v3, v4, 0x1                   // scaleToBpe: accumulate d0 lower and *= bpe into Cin addr
v_cndmask_b32 v94, -1, v94, s[56:57]               // LDD clip if OOB. offset
/* (d1,vc1,d0,vc0)=(5,0,2,0) */
s_mov_b32 s52, 128                                 // coordOffset0 d0=2 vc0=0
_v_add_co_u32 v4, vcc, v0, s52                     // coord0.2: coord0 += d0*sg0*VW + vc0
v_cmp_lt_u32 s[52:53], v4, s[sgprSizeI]            // coord0 < size0
v_cmp_lt_u32 s[56:57], v1, s[sgprSizeJ]            // coord1 < size1
s_and_b64 s[56:57], s[52:53], s[56:57]             // in0 && in1
_v_add_lshl_u32 v98, v2, v4, 0x1                   // scaleToBpe: accumulate d0 lower and *= bpe into Cin addr
v_cndmask_b32 v98, -1, v98, s[56:57]               // LDC clip if OOB. offset
_buffer_load_b32 v99, v98, s[sgprSrdC:sgprSrdC+3], 0, offen offset:0,  sc0 sc1 // load C for beta calc
_v_add_lshl_u32 v98, v3, v4, 0x1                   // scaleToBpe: accumulate d0 lower and *= bpe into Cin addr
v_cndmask_b32 v98, -1, v98, s[56:57]               // LDD clip if OOB. offset
/* (d1,vc1,d0,vc0)=(5,0,3,0) */
s_mov_b32 s52, 192                                 // coordOffset0 d0=3 vc0=0
_v_add_co_u32 v4, vcc, v0, s52                     // coord0.2: coord0 += d0*sg0*VW + vc0
v_cmp_lt_u32 s[52:53], v4, s[sgprSizeI]            // coord0 < size0
v_cmp_lt_u32 s[56:57], v1, s[sgprSizeJ]            // coord1 < size1
s_and_b64 s[56:57], s[52:53], s[56:57]             // in0 && in1
_v_add_lshl_u32 v102, v2, v4, 0x1                  // scaleToBpe: accumulate d0 lower and *= bpe into Cin addr
v_cndmask_b32 v102, -1, v102, s[56:57]             // LDC clip if OOB. offset
_buffer_load_b32 v103, v102, s[sgprSrdC:sgprSrdC+3], 0, offen offset:0,  sc0 sc1 // load C for beta calc
_v_add_lshl_u32 v102, v3, v4, 0x1                  // scaleToBpe: accumulate d0 lower and *= bpe into Cin addr
v_cndmask_b32 v102, -1, v102, s[56:57]             // LDD clip if OOB. offset
/* (d1,vc1,d0,vc0)=(5,1,0,0) */
_v_add_co_u32 v1, vcc, v1, 1                       // coord1.1: coord1Vgpr += d1*sg1*VW + vc1

/* Fix for UseInitialStridesCD, emitAddressSetupCode */
_v_add_u32 v2, v2, s[sgprStrideC1J]                // ROWINC- Move cinRowPtr to next row
_v_add_u32 v3, v3, s[sgprStrideD1J]                // Move coutRowPtr to next row
v_cmp_lt_u32 s[52:53], v0, s[sgprSizeI]            // coord0 < size0
v_cmp_lt_u32 s[56:57], v1, s[sgprSizeJ]            // coord1 < size1
s_and_b64 s[56:57], s[52:53], s[56:57]             // in0 && in1
_v_add_lshl_u32 v106, v2, v0, 0x1                  // scaleToBpe: accumulate d0 lower and *= bpe into Cin addr
v_cndmask_b32 v106, -1, v106, s[56:57]             // LDC clip if OOB. offset
_buffer_load_b32 v107, v106, s[sgprSrdC:sgprSrdC+3], 0, offen offset:0,  sc0 sc1 // load C for beta calc
_v_add_lshl_u32 v106, v3, v0, 0x1                  // scaleToBpe: accumulate d0 lower and *= bpe into Cin addr
v_cndmask_b32 v106, -1, v106, s[56:57]             // LDD clip if OOB. offset
/* (d1,vc1,d0,vc0)=(5,1,1,0) */
_v_add_co_u32 v4, vcc, v0, 64                      // coord0.1: coord0 += d0*sg0*VW + vc0
v_cmp_lt_u32 s[52:53], v4, s[sgprSizeI]            // coord0 < size0
v_cmp_lt_u32 s[56:57], v1, s[sgprSizeJ]            // coord1 < size1
s_and_b64 s[56:57], s[52:53], s[56:57]             // in0 && in1
_v_add_lshl_u32 v110, v2, v4, 0x1                  // scaleToBpe: accumulate d0 lower and *= bpe into Cin addr
v_cndmask_b32 v110, -1, v110, s[56:57]             // LDC clip if OOB. offset
_buffer_load_b32 v111, v110, s[sgprSrdC:sgprSrdC+3], 0, offen offset:0,  sc0 sc1 // load C for beta calc
_v_add_lshl_u32 v110, v3, v4, 0x1                  // scaleToBpe: accumulate d0 lower and *= bpe into Cin addr
v_cndmask_b32 v110, -1, v110, s[56:57]             // LDD clip if OOB. offset
/* (d1,vc1,d0,vc0)=(5,1,2,0) */
s_mov_b32 s52, 128                                 // coordOffset0 d0=2 vc0=0
_v_add_co_u32 v4, vcc, v0, s52                     // coord0.2: coord0 += d0*sg0*VW + vc0
v_cmp_lt_u32 s[52:53], v4, s[sgprSizeI]            // coord0 < size0
v_cmp_lt_u32 s[56:57], v1, s[sgprSizeJ]            // coord1 < size1
s_and_b64 s[56:57], s[52:53], s[56:57]             // in0 && in1
_v_add_lshl_u32 v114, v2, v4, 0x1                  // scaleToBpe: accumulate d0 lower and *= bpe into Cin addr
v_cndmask_b32 v114, -1, v114, s[56:57]             // LDC clip if OOB. offset
_buffer_load_b32 v115, v114, s[sgprSrdC:sgprSrdC+3], 0, offen offset:0,  sc0 sc1 // load C for beta calc
_v_add_lshl_u32 v114, v3, v4, 0x1                  // scaleToBpe: accumulate d0 lower and *= bpe into Cin addr
v_cndmask_b32 v114, -1, v114, s[56:57]             // LDD clip if OOB. offset
/* (d1,vc1,d0,vc0)=(5,1,3,0) */
s_mov_b32 s52, 192                                 // coordOffset0 d0=3 vc0=0
_v_add_co_u32 v4, vcc, v0, s52                     // coord0.2: coord0 += d0*sg0*VW + vc0
v_cmp_lt_u32 s[52:53], v4, s[sgprSizeI]            // coord0 < size0
v_cmp_lt_u32 s[56:57], v1, s[sgprSizeJ]            // coord1 < size1
s_and_b64 s[56:57], s[52:53], s[56:57]             // in0 && in1
_v_add_lshl_u32 v118, v2, v4, 0x1                  // scaleToBpe: accumulate d0 lower and *= bpe into Cin addr
v_cndmask_b32 v118, -1, v118, s[56:57]             // LDC clip if OOB. offset
_buffer_load_b32 v119, v118, s[sgprSrdC:sgprSrdC+3], 0, offen offset:0,  sc0 sc1 // load C for beta calc
_v_add_lshl_u32 v118, v3, v4, 0x1                  // scaleToBpe: accumulate d0 lower and *= bpe into Cin addr
v_cndmask_b32 v118, -1, v118, s[56:57]             // LDD clip if OOB. offset
/* (d1,vc1,d0,vc0)=(5,2,0,0) */
_v_add_co_u32 v1, vcc, v1, 1                       // coord1.1: coord1Vgpr += d1*sg1*VW + vc1

/* Fix for UseInitialStridesCD, emitAddressSetupCode */
_v_add_u32 v2, v2, s[sgprStrideC1J]                // ROWINC- Move cinRowPtr to next row
_v_add_u32 v3, v3, s[sgprStrideD1J]                // Move coutRowPtr to next row
v_cmp_lt_u32 s[52:53], v0, s[sgprSizeI]            // coord0 < size0
v_cmp_lt_u32 s[56:57], v1, s[sgprSizeJ]            // coord1 < size1
s_and_b64 s[56:57], s[52:53], s[56:57]             // in0 && in1
_v_add_lshl_u32 v122, v2, v0, 0x1                  // scaleToBpe: accumulate d0 lower and *= bpe into Cin addr
v_cndmask_b32 v122, -1, v122, s[56:57]             // LDC clip if OOB. offset
_buffer_load_b32 v123, v122, s[sgprSrdC:sgprSrdC+3], 0, offen offset:0,  sc0 sc1 // load C for beta calc
_v_add_lshl_u32 v122, v3, v0, 0x1                  // scaleToBpe: accumulate d0 lower and *= bpe into Cin addr
v_cndmask_b32 v122, -1, v122, s[56:57]             // LDD clip if OOB. offset
/* (d1,vc1,d0,vc0)=(5,2,1,0) */
_v_add_co_u32 v4, vcc, v0, 64                      // coord0.1: coord0 += d0*sg0*VW + vc0
v_cmp_lt_u32 s[52:53], v4, s[sgprSizeI]            // coord0 < size0
v_cmp_lt_u32 s[56:57], v1, s[sgprSizeJ]            // coord1 < size1
s_and_b64 s[56:57], s[52:53], s[56:57]             // in0 && in1
_v_add_lshl_u32 v126, v2, v4, 0x1                  // scaleToBpe: accumulate d0 lower and *= bpe into Cin addr
v_cndmask_b32 v126, -1, v126, s[56:57]             // LDC clip if OOB. offset
_buffer_load_b32 v127, v126, s[sgprSrdC:sgprSrdC+3], 0, offen offset:0,  sc0 sc1 // load C for beta calc
_v_add_lshl_u32 v126, v3, v4, 0x1                  // scaleToBpe: accumulate d0 lower and *= bpe into Cin addr
v_cndmask_b32 v126, -1, v126, s[56:57]             // LDD clip if OOB. offset
/* (d1,vc1,d0,vc0)=(5,2,2,0) */
s_mov_b32 s52, 128                                 // coordOffset0 d0=2 vc0=0
_v_add_co_u32 v4, vcc, v0, s52                     // coord0.2: coord0 += d0*sg0*VW + vc0
v_cmp_lt_u32 s[52:53], v4, s[sgprSizeI]            // coord0 < size0
v_cmp_lt_u32 s[56:57], v1, s[sgprSizeJ]            // coord1 < size1
s_and_b64 s[56:57], s[52:53], s[56:57]             // in0 && in1
_v_add_lshl_u32 v130, v2, v4, 0x1                  // scaleToBpe: accumulate d0 lower and *= bpe into Cin addr
v_cndmask_b32 v130, -1, v130, s[56:57]             // LDC clip if OOB. offset
_buffer_load_b32 v131, v130, s[sgprSrdC:sgprSrdC+3], 0, offen offset:0,  sc0 sc1 // load C for beta calc
_v_add_lshl_u32 v130, v3, v4, 0x1                  // scaleToBpe: accumulate d0 lower and *= bpe into Cin addr
v_cndmask_b32 v130, -1, v130, s[56:57]             // LDD clip if OOB. offset
	;; [unrolled: 46-line block ×3, first 2 shown]
/* (d1,vc1,d0,vc0)=(5,3,3,0) */
s_mov_b32 s52, 192                                 // coordOffset0 d0=3 vc0=0
_v_add_co_u32 v4, vcc, v0, s52                     // coord0.2: coord0 += d0*sg0*VW + vc0
v_cmp_lt_u32 s[52:53], v4, s[sgprSizeI]            // coord0 < size0
v_cmp_lt_u32 s[56:57], v1, s[sgprSizeJ]            // coord1 < size1
s_and_b64 s[56:57], s[52:53], s[56:57]             // in0 && in1
_v_add_lshl_u32 v151, v2, v4, 0x1                  // scaleToBpe: accumulate d0 lower and *= bpe into Cin addr
v_cndmask_b32 v151, -1, v151, s[56:57]             // LDC clip if OOB. offset
_buffer_load_b32 v154, v151, s[sgprSrdC:sgprSrdC+3], 0, offen offset:0,  sc0 sc1 // load C for beta calc
_v_add_lshl_u32 v151, v3, v4, 0x1                  // scaleToBpe: accumulate d0 lower and *= bpe into Cin addr
v_cndmask_b32 v151, -1, v151, s[56:57]             // LDD clip if OOB. offset
/* (d1,vc1,d0,vc0)=(6,0,0,0) */
_v_add_co_u32 v1, vcc, v1, 29                      // coord1.1: coord1Vgpr += d1*sg1*VW + vc1

/* Fix for UseInitialStridesCD, emitAddressSetupCode */
s_mul_i32 s52, s[sgprStrideC1J], 29                // scale stride
_v_add_u32 v2, v2, s52                             // ROWINC- Move cinRowPtr to next row
s_mul_i32 s52, s[sgprStrideD1J], 29                // scale stride
_v_add_u32 v3, v3, s52                             // Move coutRowPtr to next row
v_cmp_lt_u32 s[52:53], v0, s[sgprSizeI]            // coord0 < size0
v_cmp_lt_u32 s[56:57], v1, s[sgprSizeJ]            // coord1 < size1
s_and_b64 s[56:57], s[52:53], s[56:57]             // in0 && in1
_v_add_lshl_u32 v155, v2, v0, 0x1                  // scaleToBpe: accumulate d0 lower and *= bpe into Cin addr
v_cndmask_b32 v155, -1, v155, s[56:57]             // LDC clip if OOB. offset
_buffer_load_b32 v158, v155, s[sgprSrdC:sgprSrdC+3], 0, offen offset:0,  sc0 sc1 // load C for beta calc
_v_add_lshl_u32 v155, v3, v0, 0x1                  // scaleToBpe: accumulate d0 lower and *= bpe into Cin addr
v_cndmask_b32 v155, -1, v155, s[56:57]             // LDD clip if OOB. offset
/* (d1,vc1,d0,vc0)=(6,0,1,0) */
_v_add_co_u32 v4, vcc, v0, 64                      // coord0.1: coord0 += d0*sg0*VW + vc0
v_cmp_lt_u32 s[52:53], v4, s[sgprSizeI]            // coord0 < size0
v_cmp_lt_u32 s[56:57], v1, s[sgprSizeJ]            // coord1 < size1
s_and_b64 s[56:57], s[52:53], s[56:57]             // in0 && in1
_v_add_lshl_u32 v159, v2, v4, 0x1                  // scaleToBpe: accumulate d0 lower and *= bpe into Cin addr
v_cndmask_b32 v159, -1, v159, s[56:57]             // LDC clip if OOB. offset
_buffer_load_b32 v162, v159, s[sgprSrdC:sgprSrdC+3], 0, offen offset:0,  sc0 sc1 // load C for beta calc
_v_add_lshl_u32 v159, v3, v4, 0x1                  // scaleToBpe: accumulate d0 lower and *= bpe into Cin addr
v_cndmask_b32 v159, -1, v159, s[56:57]             // LDD clip if OOB. offset
/* (d1,vc1,d0,vc0)=(6,0,2,0) */
s_mov_b32 s52, 128                                 // coordOffset0 d0=2 vc0=0
_v_add_co_u32 v4, vcc, v0, s52                     // coord0.2: coord0 += d0*sg0*VW + vc0
v_cmp_lt_u32 s[52:53], v4, s[sgprSizeI]            // coord0 < size0
v_cmp_lt_u32 s[56:57], v1, s[sgprSizeJ]            // coord1 < size1
s_and_b64 s[56:57], s[52:53], s[56:57]             // in0 && in1
_v_add_lshl_u32 v163, v2, v4, 0x1                  // scaleToBpe: accumulate d0 lower and *= bpe into Cin addr
v_cndmask_b32 v163, -1, v163, s[56:57]             // LDC clip if OOB. offset
_buffer_load_b32 v166, v163, s[sgprSrdC:sgprSrdC+3], 0, offen offset:0,  sc0 sc1 // load C for beta calc
_v_add_lshl_u32 v163, v3, v4, 0x1                  // scaleToBpe: accumulate d0 lower and *= bpe into Cin addr
v_cndmask_b32 v163, -1, v163, s[56:57]             // LDD clip if OOB. offset
/* (d1,vc1,d0,vc0)=(6,0,3,0) */
s_mov_b32 s52, 192                                 // coordOffset0 d0=3 vc0=0
_v_add_co_u32 v4, vcc, v0, s52                     // coord0.2: coord0 += d0*sg0*VW + vc0
v_cmp_lt_u32 s[52:53], v4, s[sgprSizeI]            // coord0 < size0
v_cmp_lt_u32 s[56:57], v1, s[sgprSizeJ]            // coord1 < size1
s_and_b64 s[56:57], s[52:53], s[56:57]             // in0 && in1
_v_add_lshl_u32 v167, v2, v4, 0x1                  // scaleToBpe: accumulate d0 lower and *= bpe into Cin addr
v_cndmask_b32 v167, -1, v167, s[56:57]             // LDC clip if OOB. offset
_buffer_load_b32 v170, v167, s[sgprSrdC:sgprSrdC+3], 0, offen offset:0,  sc0 sc1 // load C for beta calc
_v_add_lshl_u32 v167, v3, v4, 0x1                  // scaleToBpe: accumulate d0 lower and *= bpe into Cin addr
v_cndmask_b32 v167, -1, v167, s[56:57]             // LDD clip if OOB. offset
/* (d1,vc1,d0,vc0)=(6,1,0,0) */
_v_add_co_u32 v1, vcc, v1, 1                       // coord1.1: coord1Vgpr += d1*sg1*VW + vc1

/* Fix for UseInitialStridesCD, emitAddressSetupCode */
_v_add_u32 v2, v2, s[sgprStrideC1J]                // ROWINC- Move cinRowPtr to next row
_v_add_u32 v3, v3, s[sgprStrideD1J]                // Move coutRowPtr to next row
v_cmp_lt_u32 s[52:53], v0, s[sgprSizeI]            // coord0 < size0
v_cmp_lt_u32 s[56:57], v1, s[sgprSizeJ]            // coord1 < size1
s_and_b64 s[56:57], s[52:53], s[56:57]             // in0 && in1
_v_add_lshl_u32 v171, v2, v0, 0x1                  // scaleToBpe: accumulate d0 lower and *= bpe into Cin addr
v_cndmask_b32 v171, -1, v171, s[56:57]             // LDC clip if OOB. offset
_buffer_load_b32 v174, v171, s[sgprSrdC:sgprSrdC+3], 0, offen offset:0,  sc0 sc1 // load C for beta calc
_v_add_lshl_u32 v171, v3, v0, 0x1                  // scaleToBpe: accumulate d0 lower and *= bpe into Cin addr
v_cndmask_b32 v171, -1, v171, s[56:57]             // LDD clip if OOB. offset
/* (d1,vc1,d0,vc0)=(6,1,1,0) */
_v_add_co_u32 v4, vcc, v0, 64                      // coord0.1: coord0 += d0*sg0*VW + vc0
v_cmp_lt_u32 s[52:53], v4, s[sgprSizeI]            // coord0 < size0
v_cmp_lt_u32 s[56:57], v1, s[sgprSizeJ]            // coord1 < size1
s_and_b64 s[56:57], s[52:53], s[56:57]             // in0 && in1
_v_add_lshl_u32 v175, v2, v4, 0x1                  // scaleToBpe: accumulate d0 lower and *= bpe into Cin addr
v_cndmask_b32 v175, -1, v175, s[56:57]             // LDC clip if OOB. offset
_buffer_load_b32 v178, v175, s[sgprSrdC:sgprSrdC+3], 0, offen offset:0,  sc0 sc1 // load C for beta calc
_v_add_lshl_u32 v175, v3, v4, 0x1                  // scaleToBpe: accumulate d0 lower and *= bpe into Cin addr
v_cndmask_b32 v175, -1, v175, s[56:57]             // LDD clip if OOB. offset
/* (d1,vc1,d0,vc0)=(6,1,2,0) */
s_mov_b32 s52, 128                                 // coordOffset0 d0=2 vc0=0
_v_add_co_u32 v4, vcc, v0, s52                     // coord0.2: coord0 += d0*sg0*VW + vc0
v_cmp_lt_u32 s[52:53], v4, s[sgprSizeI]            // coord0 < size0
v_cmp_lt_u32 s[56:57], v1, s[sgprSizeJ]            // coord1 < size1
s_and_b64 s[56:57], s[52:53], s[56:57]             // in0 && in1
_v_add_lshl_u32 v179, v2, v4, 0x1                  // scaleToBpe: accumulate d0 lower and *= bpe into Cin addr
v_cndmask_b32 v179, -1, v179, s[56:57]             // LDC clip if OOB. offset
_buffer_load_b32 v182, v179, s[sgprSrdC:sgprSrdC+3], 0, offen offset:0,  sc0 sc1 // load C for beta calc
_v_add_lshl_u32 v179, v3, v4, 0x1                  // scaleToBpe: accumulate d0 lower and *= bpe into Cin addr
v_cndmask_b32 v179, -1, v179, s[56:57]             // LDD clip if OOB. offset
/* (d1,vc1,d0,vc0)=(6,1,3,0) */
s_mov_b32 s52, 192                                 // coordOffset0 d0=3 vc0=0
_v_add_co_u32 v4, vcc, v0, s52                     // coord0.2: coord0 += d0*sg0*VW + vc0
v_cmp_lt_u32 s[52:53], v4, s[sgprSizeI]            // coord0 < size0
v_cmp_lt_u32 s[56:57], v1, s[sgprSizeJ]            // coord1 < size1
s_and_b64 s[56:57], s[52:53], s[56:57]             // in0 && in1
_v_add_lshl_u32 v183, v2, v4, 0x1                  // scaleToBpe: accumulate d0 lower and *= bpe into Cin addr
v_cndmask_b32 v183, -1, v183, s[56:57]             // LDC clip if OOB. offset
_buffer_load_b32 v186, v183, s[sgprSrdC:sgprSrdC+3], 0, offen offset:0,  sc0 sc1 // load C for beta calc
_v_add_lshl_u32 v183, v3, v4, 0x1                  // scaleToBpe: accumulate d0 lower and *= bpe into Cin addr
v_cndmask_b32 v183, -1, v183, s[56:57]             // LDD clip if OOB. offset
/* (d1,vc1,d0,vc0)=(6,2,0,0) */
_v_add_co_u32 v1, vcc, v1, 1                       // coord1.1: coord1Vgpr += d1*sg1*VW + vc1

/* Fix for UseInitialStridesCD, emitAddressSetupCode */
_v_add_u32 v2, v2, s[sgprStrideC1J]                // ROWINC- Move cinRowPtr to next row
_v_add_u32 v3, v3, s[sgprStrideD1J]                // Move coutRowPtr to next row
v_cmp_lt_u32 s[52:53], v0, s[sgprSizeI]            // coord0 < size0
v_cmp_lt_u32 s[56:57], v1, s[sgprSizeJ]            // coord1 < size1
s_and_b64 s[56:57], s[52:53], s[56:57]             // in0 && in1
_v_add_lshl_u32 v187, v2, v0, 0x1                  // scaleToBpe: accumulate d0 lower and *= bpe into Cin addr
v_cndmask_b32 v187, -1, v187, s[56:57]             // LDC clip if OOB. offset
_buffer_load_b32 v190, v187, s[sgprSrdC:sgprSrdC+3], 0, offen offset:0,  sc0 sc1 // load C for beta calc
_v_add_lshl_u32 v187, v3, v0, 0x1                  // scaleToBpe: accumulate d0 lower and *= bpe into Cin addr
v_cndmask_b32 v187, -1, v187, s[56:57]             // LDD clip if OOB. offset
/* (d1,vc1,d0,vc0)=(6,2,1,0) */
_v_add_co_u32 v4, vcc, v0, 64                      // coord0.1: coord0 += d0*sg0*VW + vc0
v_cmp_lt_u32 s[52:53], v4, s[sgprSizeI]            // coord0 < size0
v_cmp_lt_u32 s[56:57], v1, s[sgprSizeJ]            // coord1 < size1
s_and_b64 s[56:57], s[52:53], s[56:57]             // in0 && in1
_v_add_lshl_u32 v191, v2, v4, 0x1                  // scaleToBpe: accumulate d0 lower and *= bpe into Cin addr
v_cndmask_b32 v191, -1, v191, s[56:57]             // LDC clip if OOB. offset
_buffer_load_b32 v194, v191, s[sgprSrdC:sgprSrdC+3], 0, offen offset:0,  sc0 sc1 // load C for beta calc
_v_add_lshl_u32 v191, v3, v4, 0x1                  // scaleToBpe: accumulate d0 lower and *= bpe into Cin addr
v_cndmask_b32 v191, -1, v191, s[56:57]             // LDD clip if OOB. offset
/* (d1,vc1,d0,vc0)=(6,2,2,0) */
s_mov_b32 s52, 128                                 // coordOffset0 d0=2 vc0=0
_v_add_co_u32 v4, vcc, v0, s52                     // coord0.2: coord0 += d0*sg0*VW + vc0
v_cmp_lt_u32 s[52:53], v4, s[sgprSizeI]            // coord0 < size0
v_cmp_lt_u32 s[56:57], v1, s[sgprSizeJ]            // coord1 < size1
s_and_b64 s[56:57], s[52:53], s[56:57]             // in0 && in1
_v_add_lshl_u32 v195, v2, v4, 0x1                  // scaleToBpe: accumulate d0 lower and *= bpe into Cin addr
v_cndmask_b32 v195, -1, v195, s[56:57]             // LDC clip if OOB. offset
_buffer_load_b32 v198, v195, s[sgprSrdC:sgprSrdC+3], 0, offen offset:0,  sc0 sc1 // load C for beta calc
_v_add_lshl_u32 v195, v3, v4, 0x1                  // scaleToBpe: accumulate d0 lower and *= bpe into Cin addr
v_cndmask_b32 v195, -1, v195, s[56:57]             // LDD clip if OOB. offset
/* (d1,vc1,d0,vc0)=(6,2,3,0) */
s_mov_b32 s52, 192                                 // coordOffset0 d0=3 vc0=0
_v_add_co_u32 v4, vcc, v0, s52                     // coord0.2: coord0 += d0*sg0*VW + vc0
v_cmp_lt_u32 s[52:53], v4, s[sgprSizeI]            // coord0 < size0
v_cmp_lt_u32 s[56:57], v1, s[sgprSizeJ]            // coord1 < size1
s_and_b64 s[56:57], s[52:53], s[56:57]             // in0 && in1
_v_add_lshl_u32 v199, v2, v4, 0x1                  // scaleToBpe: accumulate d0 lower and *= bpe into Cin addr
v_cndmask_b32 v199, -1, v199, s[56:57]             // LDC clip if OOB. offset
_buffer_load_b32 v202, v199, s[sgprSrdC:sgprSrdC+3], 0, offen offset:0,  sc0 sc1 // load C for beta calc
_v_add_lshl_u32 v199, v3, v4, 0x1                  // scaleToBpe: accumulate d0 lower and *= bpe into Cin addr
v_cndmask_b32 v199, -1, v199, s[56:57]             // LDD clip if OOB. offset
/* (d1,vc1,d0,vc0)=(6,3,0,0) */
_v_add_co_u32 v1, vcc, v1, 1                       // coord1.1: coord1Vgpr += d1*sg1*VW + vc1

/* Fix for UseInitialStridesCD, emitAddressSetupCode */
_v_add_u32 v2, v2, s[sgprStrideC1J]                // ROWINC- Move cinRowPtr to next row
_v_add_u32 v3, v3, s[sgprStrideD1J]                // Move coutRowPtr to next row
v_cmp_lt_u32 s[52:53], v0, s[sgprSizeI]            // coord0 < size0
v_cmp_lt_u32 s[56:57], v1, s[sgprSizeJ]            // coord1 < size1
s_and_b64 s[56:57], s[52:53], s[56:57]             // in0 && in1
_v_add_lshl_u32 v203, v2, v0, 0x1                  // scaleToBpe: accumulate d0 lower and *= bpe into Cin addr
v_cndmask_b32 v203, -1, v203, s[56:57]             // LDC clip if OOB. offset
_buffer_load_b32 v206, v203, s[sgprSrdC:sgprSrdC+3], 0, offen offset:0,  sc0 sc1 // load C for beta calc
_v_add_lshl_u32 v203, v3, v0, 0x1                  // scaleToBpe: accumulate d0 lower and *= bpe into Cin addr
v_cndmask_b32 v203, -1, v203, s[56:57]             // LDD clip if OOB. offset
/* (d1,vc1,d0,vc0)=(6,3,1,0) */
_v_add_co_u32 v4, vcc, v0, 64                      // coord0.1: coord0 += d0*sg0*VW + vc0
v_cmp_lt_u32 s[52:53], v4, s[sgprSizeI]            // coord0 < size0
v_cmp_lt_u32 s[56:57], v1, s[sgprSizeJ]            // coord1 < size1
s_and_b64 s[56:57], s[52:53], s[56:57]             // in0 && in1
_v_add_lshl_u32 v207, v2, v4, 0x1                  // scaleToBpe: accumulate d0 lower and *= bpe into Cin addr
v_cndmask_b32 v207, -1, v207, s[56:57]             // LDC clip if OOB. offset
_buffer_load_b32 v210, v207, s[sgprSrdC:sgprSrdC+3], 0, offen offset:0,  sc0 sc1 // load C for beta calc
_v_add_lshl_u32 v207, v3, v4, 0x1                  // scaleToBpe: accumulate d0 lower and *= bpe into Cin addr
v_cndmask_b32 v207, -1, v207, s[56:57]             // LDD clip if OOB. offset
/* (d1,vc1,d0,vc0)=(6,3,2,0) */
s_mov_b32 s52, 128                                 // coordOffset0 d0=2 vc0=0
_v_add_co_u32 v4, vcc, v0, s52                     // coord0.2: coord0 += d0*sg0*VW + vc0
v_cmp_lt_u32 s[52:53], v4, s[sgprSizeI]            // coord0 < size0
v_cmp_lt_u32 s[56:57], v1, s[sgprSizeJ]            // coord1 < size1
s_and_b64 s[56:57], s[52:53], s[56:57]             // in0 && in1
_v_add_lshl_u32 v211, v2, v4, 0x1                  // scaleToBpe: accumulate d0 lower and *= bpe into Cin addr
v_cndmask_b32 v211, -1, v211, s[56:57]             // LDC clip if OOB. offset
_buffer_load_b32 v214, v211, s[sgprSrdC:sgprSrdC+3], 0, offen offset:0,  sc0 sc1 // load C for beta calc
_v_add_lshl_u32 v211, v3, v4, 0x1                  // scaleToBpe: accumulate d0 lower and *= bpe into Cin addr
v_cndmask_b32 v211, -1, v211, s[56:57]             // LDD clip if OOB. offset
/* (d1,vc1,d0,vc0)=(6,3,3,0) */
s_mov_b32 s52, 192                                 // coordOffset0 d0=3 vc0=0
_v_add_co_u32 v4, vcc, v0, s52                     // coord0.2: coord0 += d0*sg0*VW + vc0
v_cmp_lt_u32 s[52:53], v4, s[sgprSizeI]            // coord0 < size0
v_cmp_lt_u32 s[56:57], v1, s[sgprSizeJ]            // coord1 < size1
s_and_b64 s[56:57], s[52:53], s[56:57]             // in0 && in1
_v_add_lshl_u32 v215, v2, v4, 0x1                  // scaleToBpe: accumulate d0 lower and *= bpe into Cin addr
v_cndmask_b32 v215, -1, v215, s[56:57]             // LDC clip if OOB. offset
_buffer_load_b32 v218, v215, s[sgprSrdC:sgprSrdC+3], 0, offen offset:0,  sc0 sc1 // load C for beta calc
_v_add_lshl_u32 v215, v3, v4, 0x1                  // scaleToBpe: accumulate d0 lower and *= bpe into Cin addr
v_cndmask_b32 v215, -1, v215, s[56:57]             // LDD clip if OOB. offset
/* (d1,vc1,d0,vc0)=(7,0,0,0) */
_v_add_co_u32 v1, vcc, v1, 29                      // coord1.1: coord1Vgpr += d1*sg1*VW + vc1

/* Fix for UseInitialStridesCD, emitAddressSetupCode */
s_mul_i32 s52, s[sgprStrideC1J], 29                // scale stride
_v_add_u32 v2, v2, s52                             // ROWINC- Move cinRowPtr to next row
s_mul_i32 s52, s[sgprStrideD1J], 29                // scale stride
_v_add_u32 v3, v3, s52                             // Move coutRowPtr to next row
v_cmp_lt_u32 s[52:53], v0, s[sgprSizeI]            // coord0 < size0
v_cmp_lt_u32 s[56:57], v1, s[sgprSizeJ]            // coord1 < size1
s_and_b64 s[56:57], s[52:53], s[56:57]             // in0 && in1
_v_add_lshl_u32 v219, v2, v0, 0x1                  // scaleToBpe: accumulate d0 lower and *= bpe into Cin addr
v_cndmask_b32 v219, -1, v219, s[56:57]             // LDC clip if OOB. offset
_buffer_load_b32 v222, v219, s[sgprSrdC:sgprSrdC+3], 0, offen offset:0,  sc0 sc1 // load C for beta calc
_v_add_lshl_u32 v219, v3, v0, 0x1                  // scaleToBpe: accumulate d0 lower and *= bpe into Cin addr
v_cndmask_b32 v219, -1, v219, s[56:57]             // LDD clip if OOB. offset
/* (d1,vc1,d0,vc0)=(7,0,1,0) */
_v_add_co_u32 v4, vcc, v0, 64                      // coord0.1: coord0 += d0*sg0*VW + vc0
v_cmp_lt_u32 s[52:53], v4, s[sgprSizeI]            // coord0 < size0
v_cmp_lt_u32 s[56:57], v1, s[sgprSizeJ]            // coord1 < size1
s_and_b64 s[56:57], s[52:53], s[56:57]             // in0 && in1
_v_add_lshl_u32 v223, v2, v4, 0x1                  // scaleToBpe: accumulate d0 lower and *= bpe into Cin addr
v_cndmask_b32 v223, -1, v223, s[56:57]             // LDC clip if OOB. offset
_buffer_load_b32 v226, v223, s[sgprSrdC:sgprSrdC+3], 0, offen offset:0,  sc0 sc1 // load C for beta calc
_v_add_lshl_u32 v223, v3, v4, 0x1                  // scaleToBpe: accumulate d0 lower and *= bpe into Cin addr
v_cndmask_b32 v223, -1, v223, s[56:57]             // LDD clip if OOB. offset
/* (d1,vc1,d0,vc0)=(7,0,2,0) */
s_mov_b32 s52, 128                                 // coordOffset0 d0=2 vc0=0
_v_add_co_u32 v4, vcc, v0, s52                     // coord0.2: coord0 += d0*sg0*VW + vc0
v_cmp_lt_u32 s[52:53], v4, s[sgprSizeI]            // coord0 < size0
v_cmp_lt_u32 s[56:57], v1, s[sgprSizeJ]            // coord1 < size1
s_and_b64 s[56:57], s[52:53], s[56:57]             // in0 && in1
_v_add_lshl_u32 v227, v2, v4, 0x1                  // scaleToBpe: accumulate d0 lower and *= bpe into Cin addr
v_cndmask_b32 v227, -1, v227, s[56:57]             // LDC clip if OOB. offset
_buffer_load_b32 v230, v227, s[sgprSrdC:sgprSrdC+3], 0, offen offset:0,  sc0 sc1 // load C for beta calc
_v_add_lshl_u32 v227, v3, v4, 0x1                  // scaleToBpe: accumulate d0 lower and *= bpe into Cin addr
v_cndmask_b32 v227, -1, v227, s[56:57]             // LDD clip if OOB. offset
/* (d1,vc1,d0,vc0)=(7,0,3,0) */
s_mov_b32 s52, 192                                 // coordOffset0 d0=3 vc0=0
_v_add_co_u32 v4, vcc, v0, s52                     // coord0.2: coord0 += d0*sg0*VW + vc0
v_cmp_lt_u32 s[52:53], v4, s[sgprSizeI]            // coord0 < size0
v_cmp_lt_u32 s[56:57], v1, s[sgprSizeJ]            // coord1 < size1
s_and_b64 s[56:57], s[52:53], s[56:57]             // in0 && in1
_v_add_lshl_u32 v231, v2, v4, 0x1                  // scaleToBpe: accumulate d0 lower and *= bpe into Cin addr
v_cndmask_b32 v231, -1, v231, s[56:57]             // LDC clip if OOB. offset
_buffer_load_b32 v234, v231, s[sgprSrdC:sgprSrdC+3], 0, offen offset:0,  sc0 sc1 // load C for beta calc
_v_add_lshl_u32 v231, v3, v4, 0x1                  // scaleToBpe: accumulate d0 lower and *= bpe into Cin addr
v_cndmask_b32 v231, -1, v231, s[56:57]             // LDD clip if OOB. offset
/* (d1,vc1,d0,vc0)=(7,1,0,0) */
_v_add_co_u32 v1, vcc, v1, 1                       // coord1.1: coord1Vgpr += d1*sg1*VW + vc1

/* Fix for UseInitialStridesCD, emitAddressSetupCode */
_v_add_u32 v2, v2, s[sgprStrideC1J]                // ROWINC- Move cinRowPtr to next row
_v_add_u32 v3, v3, s[sgprStrideD1J]                // Move coutRowPtr to next row
v_cmp_lt_u32 s[52:53], v0, s[sgprSizeI]            // coord0 < size0
v_cmp_lt_u32 s[56:57], v1, s[sgprSizeJ]            // coord1 < size1
s_and_b64 s[56:57], s[52:53], s[56:57]             // in0 && in1
_v_add_lshl_u32 v235, v2, v0, 0x1                  // scaleToBpe: accumulate d0 lower and *= bpe into Cin addr
v_cndmask_b32 v235, -1, v235, s[56:57]             // LDC clip if OOB. offset
_buffer_load_b32 v238, v235, s[sgprSrdC:sgprSrdC+3], 0, offen offset:0,  sc0 sc1 // load C for beta calc
_v_add_lshl_u32 v235, v3, v0, 0x1                  // scaleToBpe: accumulate d0 lower and *= bpe into Cin addr
v_cndmask_b32 v235, -1, v235, s[56:57]             // LDD clip if OOB. offset
/* (d1,vc1,d0,vc0)=(7,1,1,0) */
_v_add_co_u32 v4, vcc, v0, 64                      // coord0.1: coord0 += d0*sg0*VW + vc0
v_cmp_lt_u32 s[52:53], v4, s[sgprSizeI]            // coord0 < size0
v_cmp_lt_u32 s[56:57], v1, s[sgprSizeJ]            // coord1 < size1
s_and_b64 s[56:57], s[52:53], s[56:57]             // in0 && in1
_v_add_lshl_u32 v239, v2, v4, 0x1                  // scaleToBpe: accumulate d0 lower and *= bpe into Cin addr
v_cndmask_b32 v239, -1, v239, s[56:57]             // LDC clip if OOB. offset
_buffer_load_b32 v242, v239, s[sgprSrdC:sgprSrdC+3], 0, offen offset:0,  sc0 sc1 // load C for beta calc
_v_add_lshl_u32 v239, v3, v4, 0x1                  // scaleToBpe: accumulate d0 lower and *= bpe into Cin addr
v_cndmask_b32 v239, -1, v239, s[56:57]             // LDD clip if OOB. offset
/* (d1,vc1,d0,vc0)=(7,1,2,0) */
s_mov_b32 s52, 128                                 // coordOffset0 d0=2 vc0=0
_v_add_co_u32 v4, vcc, v0, s52                     // coord0.2: coord0 += d0*sg0*VW + vc0
v_cmp_lt_u32 s[52:53], v4, s[sgprSizeI]            // coord0 < size0
v_cmp_lt_u32 s[56:57], v1, s[sgprSizeJ]            // coord1 < size1
s_and_b64 s[56:57], s[52:53], s[56:57]             // in0 && in1
_v_add_lshl_u32 v243, v2, v4, 0x1                  // scaleToBpe: accumulate d0 lower and *= bpe into Cin addr
v_cndmask_b32 v243, -1, v243, s[56:57]             // LDC clip if OOB. offset
_buffer_load_b32 v246, v243, s[sgprSrdC:sgprSrdC+3], 0, offen offset:0,  sc0 sc1 // load C for beta calc
_v_add_lshl_u32 v243, v3, v4, 0x1                  // scaleToBpe: accumulate d0 lower and *= bpe into Cin addr
v_cndmask_b32 v243, -1, v243, s[56:57]             // LDD clip if OOB. offset
/* (d1,vc1,d0,vc0)=(7,1,3,0) */
s_mov_b32 s52, 192                                 // coordOffset0 d0=3 vc0=0
_v_add_co_u32 v4, vcc, v0, s52                     // coord0.2: coord0 += d0*sg0*VW + vc0
v_cmp_lt_u32 s[52:53], v4, s[sgprSizeI]            // coord0 < size0
v_cmp_lt_u32 s[56:57], v1, s[sgprSizeJ]            // coord1 < size1
s_and_b64 s[56:57], s[52:53], s[56:57]             // in0 && in1
_v_add_lshl_u32 v247, v2, v4, 0x1                  // scaleToBpe: accumulate d0 lower and *= bpe into Cin addr
v_cndmask_b32 v247, -1, v247, s[56:57]             // LDC clip if OOB. offset
_buffer_load_b32 v250, v247, s[sgprSrdC:sgprSrdC+3], 0, offen offset:0,  sc0 sc1 // load C for beta calc
_v_add_lshl_u32 v247, v3, v4, 0x1                  // scaleToBpe: accumulate d0 lower and *= bpe into Cin addr
v_cndmask_b32 v247, -1, v247, s[56:57]             // LDD clip if OOB. offset
v_accvgpr_read_b32 v[vgprValuC+12], acc99 // copy acc to vreg[120]
v_accvgpr_read_b32 v[vgprValuC+13], acc103 // copy acc to vreg[121]
v_accvgpr_read_b32 v[vgprValuC+16], acc107 // copy acc to vreg[122]
v_accvgpr_read_b32 v[vgprValuC+17], acc111 // copy acc to vreg[123]
v_accvgpr_read_b32 v[vgprValuC+20], acc115 // copy acc to vreg[124]
v_accvgpr_read_b32 v[vgprValuC+21], acc119 // copy acc to vreg[125]
v_accvgpr_read_b32 v[vgprValuC+24], acc123 // copy acc to vreg[126]
v_accvgpr_read_b32 v[vgprValuC+25], acc127 // copy acc to vreg[127]
v_accvgpr_read_b32 v[vgprValuC+28], acc128 // copy acc to vreg[128]
v_accvgpr_read_b32 v[vgprValuC+29], acc132 // copy acc to vreg[129]
v_accvgpr_read_b32 v[vgprValuC+32], acc136 // copy acc to vreg[130]
v_accvgpr_read_b32 v[vgprValuC+33], acc140 // copy acc to vreg[131]
v_accvgpr_read_b32 v[vgprValuC+36], acc144 // copy acc to vreg[132]
v_accvgpr_read_b32 v[vgprValuC+37], acc148 // copy acc to vreg[133]
v_accvgpr_read_b32 v[vgprValuC+40], acc152 // copy acc to vreg[134]
v_accvgpr_read_b32 v[vgprValuC+41], acc156 // copy acc to vreg[135]
v_accvgpr_read_b32 v[vgprValuC+44], acc129 // copy acc to vreg[136]
v_accvgpr_read_b32 v[vgprValuC+45], acc133 // copy acc to vreg[137]
v_accvgpr_read_b32 v[vgprValuC+48], acc137 // copy acc to vreg[138]
v_accvgpr_read_b32 v[vgprValuC+49], acc141 // copy acc to vreg[139]
v_accvgpr_read_b32 v[vgprValuC+52], acc145 // copy acc to vreg[140]
v_accvgpr_read_b32 v[vgprValuC+53], acc149 // copy acc to vreg[141]
v_accvgpr_read_b32 v[vgprValuC+56], acc153 // copy acc to vreg[142]
v_accvgpr_read_b32 v[vgprValuC+57], acc157 // copy acc to vreg[143]
v_accvgpr_read_b32 v[vgprValuC+60], acc130 // copy acc to vreg[144]
v_accvgpr_read_b32 v[vgprValuC+61], acc134 // copy acc to vreg[145]
v_accvgpr_read_b32 v[vgprValuC+64], acc138 // copy acc to vreg[146]
v_accvgpr_read_b32 v[vgprValuC+65], acc142 // copy acc to vreg[147]
v_accvgpr_read_b32 v[vgprValuC+68], acc146 // copy acc to vreg[148]
v_accvgpr_read_b32 v[vgprValuC+69], acc150 // copy acc to vreg[149]
v_accvgpr_read_b32 v[vgprValuC+72], acc154 // copy acc to vreg[150]
v_accvgpr_read_b32 v[vgprValuC+73], acc158 // copy acc to vreg[151]
v_accvgpr_read_b32 v[vgprValuC+76], acc131 // copy acc to vreg[152]
v_accvgpr_read_b32 v[vgprValuC+77], acc135 // copy acc to vreg[153]
v_accvgpr_read_b32 v[vgprValuC+80], acc139 // copy acc to vreg[154]
v_accvgpr_read_b32 v[vgprValuC+81], acc143 // copy acc to vreg[155]
v_accvgpr_read_b32 v[vgprValuC+84], acc147 // copy acc to vreg[156]
v_accvgpr_read_b32 v[vgprValuC+85], acc151 // copy acc to vreg[157]
v_accvgpr_read_b32 v[vgprValuC+88], acc155 // copy acc to vreg[158]
v_accvgpr_read_b32 v[vgprValuC+89], acc159 // copy acc to vreg[159]
v_accvgpr_read_b32 v[vgprValuC+92], acc160 // copy acc to vreg[160]
v_accvgpr_read_b32 v[vgprValuC+93], acc164 // copy acc to vreg[161]
v_accvgpr_read_b32 v[vgprValuC+96], acc168 // copy acc to vreg[162]
v_accvgpr_read_b32 v[vgprValuC+97], acc172 // copy acc to vreg[163]
v_accvgpr_read_b32 v[vgprValuC+100], acc176 // copy acc to vreg[164]
v_accvgpr_read_b32 v[vgprValuC+101], acc180 // copy acc to vreg[165]
v_accvgpr_read_b32 v[vgprValuC+104], acc184 // copy acc to vreg[166]
v_accvgpr_read_b32 v[vgprValuC+105], acc188 // copy acc to vreg[167]
v_accvgpr_read_b32 v[vgprValuC+108], acc161 // copy acc to vreg[168]
v_accvgpr_read_b32 v[vgprValuC+109], acc165 // copy acc to vreg[169]
v_accvgpr_read_b32 v[vgprValuC+112], acc169 // copy acc to vreg[170]
v_accvgpr_read_b32 v[vgprValuC+113], acc173 // copy acc to vreg[171]
v_accvgpr_read_b32 v[vgprValuC+116], acc177 // copy acc to vreg[172]
v_accvgpr_read_b32 v[vgprValuC+117], acc181 // copy acc to vreg[173]
v_accvgpr_read_b32 v[vgprValuC+120], acc185 // copy acc to vreg[174]
v_accvgpr_read_b32 v[vgprValuC+121], acc189 // copy acc to vreg[175]
v_accvgpr_read_b32 v[vgprValuC+124], acc162 // copy acc to vreg[176]
v_accvgpr_read_b32 v[vgprValuC+125], acc166 // copy acc to vreg[177]
v_accvgpr_read_b32 v[vgprValuC+128], acc170 // copy acc to vreg[178]
v_accvgpr_read_b32 v[vgprValuC+129], acc174 // copy acc to vreg[179]
v_accvgpr_read_b32 v[vgprValuC+132], acc178 // copy acc to vreg[180]
v_accvgpr_read_b32 v[vgprValuC+133], acc182 // copy acc to vreg[181]
v_accvgpr_read_b32 v[vgprValuC+136], acc186 // copy acc to vreg[182]
v_accvgpr_read_b32 v[vgprValuC+137], acc190 // copy acc to vreg[183]
v_accvgpr_read_b32 v[vgprValuC+140], acc163 // copy acc to vreg[184]
v_accvgpr_read_b32 v[vgprValuC+141], acc167 // copy acc to vreg[185]
v_accvgpr_read_b32 v[vgprValuC+144], acc171 // copy acc to vreg[186]
v_accvgpr_read_b32 v[vgprValuC+145], acc175 // copy acc to vreg[187]
v_accvgpr_read_b32 v[vgprValuC+152], acc179 // copy acc to vreg[188]
v_accvgpr_read_b32 v[vgprValuC+153], acc183 // copy acc to vreg[189]
v_accvgpr_read_b32 v[vgprValuC+156], acc187 // copy acc to vreg[190]
v_accvgpr_read_b32 v[vgprValuC+157], acc191 // copy acc to vreg[191]
v_accvgpr_read_b32 v[vgprValuC+160], acc192 // copy acc to vreg[192]
v_accvgpr_read_b32 v[vgprValuC+161], acc196 // copy acc to vreg[193]
v_accvgpr_read_b32 v[vgprValuC+164], acc200 // copy acc to vreg[194]
v_accvgpr_read_b32 v[vgprValuC+165], acc204 // copy acc to vreg[195]
v_accvgpr_read_b32 v[vgprValuC+168], acc208 // copy acc to vreg[196]
v_accvgpr_read_b32 v[vgprValuC+169], acc212 // copy acc to vreg[197]
v_accvgpr_read_b32 v[vgprValuC+172], acc216 // copy acc to vreg[198]
v_accvgpr_read_b32 v[vgprValuC+173], acc220 // copy acc to vreg[199]
v_accvgpr_read_b32 v[vgprValuC+176], acc193 // copy acc to vreg[200]
v_accvgpr_read_b32 v[vgprValuC+177], acc197 // copy acc to vreg[201]
v_accvgpr_read_b32 v[vgprValuC+180], acc201 // copy acc to vreg[202]
v_accvgpr_read_b32 v[vgprValuC+181], acc205 // copy acc to vreg[203]
v_accvgpr_read_b32 v[vgprValuC+184], acc209 // copy acc to vreg[204]
v_accvgpr_read_b32 v[vgprValuC+185], acc213 // copy acc to vreg[205]
v_accvgpr_read_b32 v[vgprValuC+188], acc217 // copy acc to vreg[206]
v_accvgpr_read_b32 v[vgprValuC+189], acc221 // copy acc to vreg[207]
v_accvgpr_read_b32 v[vgprValuC+192], acc194 // copy acc to vreg[208]
v_accvgpr_read_b32 v[vgprValuC+193], acc198 // copy acc to vreg[209]
v_accvgpr_read_b32 v[vgprValuC+196], acc202 // copy acc to vreg[210]
v_accvgpr_read_b32 v[vgprValuC+197], acc206 // copy acc to vreg[211]
v_accvgpr_read_b32 v[vgprValuC+200], acc210 // copy acc to vreg[212]
v_accvgpr_read_b32 v[vgprValuC+201], acc214 // copy acc to vreg[213]
v_accvgpr_read_b32 v[vgprValuC+204], acc218 // copy acc to vreg[214]
v_accvgpr_read_b32 v[vgprValuC+205], acc222 // copy acc to vreg[215]
v_accvgpr_read_b32 v[vgprValuC+208], acc195 // copy acc to vreg[216]
v_accvgpr_read_b32 v[vgprValuC+209], acc199 // copy acc to vreg[217]
v_accvgpr_read_b32 v[vgprValuC+212], acc203 // copy acc to vreg[218]
v_accvgpr_read_b32 v[vgprValuC+213], acc207 // copy acc to vreg[219]
v_accvgpr_read_b32 v[vgprValuC+216], acc211 // copy acc to vreg[220]
v_accvgpr_read_b32 v[vgprValuC+217], acc215 // copy acc to vreg[221]
v_accvgpr_read_b32 v[vgprValuC+220], acc219 // copy acc to vreg[222]
v_accvgpr_read_b32 v[vgprValuC+221], acc223 // copy acc to vreg[223]
v_accvgpr_read_b32 v[vgprValuC+224], acc224 // copy acc to vreg[224]
v_accvgpr_read_b32 v[vgprValuC+225], acc228 // copy acc to vreg[225]
v_accvgpr_read_b32 v[vgprValuC+228], acc232 // copy acc to vreg[226]
v_accvgpr_read_b32 v[vgprValuC+229], acc236 // copy acc to vreg[227]
v_accvgpr_read_b32 v[vgprValuC+232], acc240 // copy acc to vreg[228]
v_accvgpr_read_b32 v[vgprValuC+233], acc244 // copy acc to vreg[229]
v_accvgpr_read_b32 v[vgprValuC+236], acc248 // copy acc to vreg[230]
v_accvgpr_read_b32 v[vgprValuC+237], acc252 // copy acc to vreg[231]
v_accvgpr_read_b32 v[vgprValuC+240], acc225 // copy acc to vreg[232]
v_accvgpr_read_b32 v[vgprValuC+241], acc229 // copy acc to vreg[233]
v_accvgpr_read_b32 v[vgprValuC+244], acc233 // copy acc to vreg[234]
v_accvgpr_read_b32 v[vgprValuC+245], acc237 // copy acc to vreg[235]
v_accvgpr_read_b32 v[vgprValuC+248], acc241 // copy acc to vreg[236]
v_accvgpr_read_b32 v[vgprValuC+249], acc245 // copy acc to vreg[237]
v_accvgpr_read_b32 v[vgprValuC+252], acc249 // copy acc to vreg[238]
v_accvgpr_read_b32 v[vgprValuC+253], acc253 // copy acc to vreg[239]
s_nop 1                                            // 2 wait states required before reading vgpr

/* rC *= alpha batchElements=[(3, 0, 3, 0), (3, 1, 3, 0), (3, 2, 3, 0), (3, 3, 3, 0), (4, 0, 0, 0), (4, 1, 0, 0), (4, 2, 0, 0), (4, 3, 0, 0), (4, 0, 1, 0), (4, 1, 1, 0), (4, 2, 1, 0), (4, 3, 1, 0), (4, 0, 2, 0), (4, 1, 2, 0), (4, 2, 2, 0), (4, 3, 2, 0), (4, 0, 3, 0), (4, 1, 3, 0), (4, 2, 3, 0), (4, 3, 3, 0), (5, 0, 0, 0), (5, 1, 0, 0), (5, 2, 0, 0), (5, 3, 0, 0), (5, 0, 1, 0), (5, 1, 1, 0), (5, 2, 1, 0), (5, 3, 1, 0), (5, 0, 2, 0), (5, 1, 2, 0), (5, 2, 2, 0), (5, 3, 2, 0), (5, 0, 3, 0), (5, 1, 3, 0), (5, 2, 3, 0), (5, 3, 3, 0), (6, 0, 0, 0), (6, 1, 0, 0), (6, 2, 0, 0), (6, 3, 0, 0), (6, 0, 1, 0), (6, 1, 1, 0), (6, 2, 1, 0), (6, 3, 1, 0), (6, 0, 2, 0), (6, 1, 2, 0), (6, 2, 2, 0), (6, 3, 2, 0), (6, 0, 3, 0), (6, 1, 3, 0), (6, 2, 3, 0), (6, 3, 3, 0), (7, 0, 0, 0), (7, 1, 0, 0), (7, 2, 0, 0), (7, 3, 0, 0), (7, 0, 1, 0), (7, 1, 1, 0), (7, 2, 1, 0), (7, 3, 1, 0)] */
v_mul_f32 v[vgprValuC+12], s[sgprAlpha], v[vgprValuC+12] // *= alpha
v_mul_f32 v[vgprValuC+13], s[sgprAlpha], v[vgprValuC+13] // *= alpha
	;; [unrolled: 1-line block ×120, first 2 shown]
s_waitcnt vmcnt(0)                                 // wait C

/* apply mask, calc new C and issue writes */
v_mov_b32 v7, 0xffff0000                           // mask for pack two bfloat16 element to 32bit
v_mov_b32 v8, 0x7fff0000                           // fp32 Nan
v_mov_b32 v9, 0x7fff                               // rounding bias for bfloat16
v_lshlrev_b32 v4, 16, v11                          // convert bf16 to fp32
_v_mac_f32 v[vgprValuC+12], v4, s[sgprBeta]        // finalSum = sum*alpha + C*beta
v_and_b32 v4, v11, v7                              // convert bf16 to fp32
_v_mac_f32 v[vgprValuC+13], v4, s[sgprBeta]        // finalSum = sum*alpha + C*beta
v_cmp_u_f32 s[52:53], v[vgprValuC+12], v[vgprValuC+12] // check Nan
v_bfe_u32 v6, v[vgprValuC+12], 16, 1               // Non-Nan case: store lsb of bf16
v_add3_u32 v6, v[vgprValuC+12], v6, v9             // Non-Nan case: add lsb and the increment for rounding
v_cndmask_b32 v[vgprValuC+12], v6, v8, s[52:53]    // 
v_lshrrev_b32 v[vgprValuC+12], 16, v[vgprValuC+12] // convert C to bf16
v_cmp_u_f32 s[52:53], v[vgprValuC+13], v[vgprValuC+13] // check Nan
v_bfe_u32 v6, v[vgprValuC+13], 16, 1               // Non-Nan case: store lsb of bf16
v_add3_u32 v6, v[vgprValuC+13], v6, v9             // Non-Nan case: add lsb and the increment for rounding
v_cndmask_b32 v[vgprValuC+13], v6, v8, s[52:53]    // 
v_and_or_b32 v12, v[vgprValuC+13], v7, v[vgprValuC+12] // pack two bf16 to dword
_buffer_store_b32 v12, v10, s[sgprSrdD:sgprSrdD+3], 0, offen, offset:0,  sc0 sc1 // store D
v_lshlrev_b32 v4, 16, v15                          // convert bf16 to fp32
_v_mac_f32 v[vgprValuC+16], v4, s[sgprBeta]        // finalSum = sum*alpha + C*beta
v_and_b32 v4, v15, v7                              // convert bf16 to fp32
_v_mac_f32 v[vgprValuC+17], v4, s[sgprBeta]        // finalSum = sum*alpha + C*beta
v_cmp_u_f32 s[52:53], v[vgprValuC+16], v[vgprValuC+16] // check Nan
v_bfe_u32 v6, v[vgprValuC+16], 16, 1               // Non-Nan case: store lsb of bf16
v_add3_u32 v6, v[vgprValuC+16], v6, v9             // Non-Nan case: add lsb and the increment for rounding
v_cndmask_b32 v[vgprValuC+16], v6, v8, s[52:53]    // 
v_lshrrev_b32 v[vgprValuC+16], 16, v[vgprValuC+16] // convert C to bf16
v_cmp_u_f32 s[52:53], v[vgprValuC+17], v[vgprValuC+17] // check Nan
v_bfe_u32 v6, v[vgprValuC+17], 16, 1               // Non-Nan case: store lsb of bf16
v_add3_u32 v6, v[vgprValuC+17], v6, v9             // Non-Nan case: add lsb and the increment for rounding
v_cndmask_b32 v[vgprValuC+17], v6, v8, s[52:53]    // 
v_and_or_b32 v16, v[vgprValuC+17], v7, v[vgprValuC+16] // pack two bf16 to dword
_buffer_store_b32 v16, v14, s[sgprSrdD:sgprSrdD+3], 0, offen, offset:0,  sc0 sc1 // store D
v_lshlrev_b32 v4, 16, v19                          // convert bf16 to fp32
_v_mac_f32 v[vgprValuC+20], v4, s[sgprBeta]        // finalSum = sum*alpha + C*beta
v_and_b32 v4, v19, v7                              // convert bf16 to fp32
_v_mac_f32 v[vgprValuC+21], v4, s[sgprBeta]        // finalSum = sum*alpha + C*beta
v_cmp_u_f32 s[52:53], v[vgprValuC+20], v[vgprValuC+20] // check Nan
v_bfe_u32 v6, v[vgprValuC+20], 16, 1               // Non-Nan case: store lsb of bf16
v_add3_u32 v6, v[vgprValuC+20], v6, v9             // Non-Nan case: add lsb and the increment for rounding
v_cndmask_b32 v[vgprValuC+20], v6, v8, s[52:53]    // 
v_lshrrev_b32 v[vgprValuC+20], 16, v[vgprValuC+20] // convert C to bf16
v_cmp_u_f32 s[52:53], v[vgprValuC+21], v[vgprValuC+21] // check Nan
v_bfe_u32 v6, v[vgprValuC+21], 16, 1               // Non-Nan case: store lsb of bf16
v_add3_u32 v6, v[vgprValuC+21], v6, v9             // Non-Nan case: add lsb and the increment for rounding
v_cndmask_b32 v[vgprValuC+21], v6, v8, s[52:53]    // 
v_and_or_b32 v20, v[vgprValuC+21], v7, v[vgprValuC+20] // pack two bf16 to dword
_buffer_store_b32 v20, v18, s[sgprSrdD:sgprSrdD+3], 0, offen, offset:0,  sc0 sc1 // store D
v_lshlrev_b32 v4, 16, v23                          // convert bf16 to fp32
_v_mac_f32 v[vgprValuC+24], v4, s[sgprBeta]        // finalSum = sum*alpha + C*beta
v_and_b32 v4, v23, v7                              // convert bf16 to fp32
_v_mac_f32 v[vgprValuC+25], v4, s[sgprBeta]        // finalSum = sum*alpha + C*beta
v_cmp_u_f32 s[52:53], v[vgprValuC+24], v[vgprValuC+24] // check Nan
v_bfe_u32 v6, v[vgprValuC+24], 16, 1               // Non-Nan case: store lsb of bf16
v_add3_u32 v6, v[vgprValuC+24], v6, v9             // Non-Nan case: add lsb and the increment for rounding
v_cndmask_b32 v[vgprValuC+24], v6, v8, s[52:53]    // 
v_lshrrev_b32 v[vgprValuC+24], 16, v[vgprValuC+24] // convert C to bf16
v_cmp_u_f32 s[52:53], v[vgprValuC+25], v[vgprValuC+25] // check Nan
v_bfe_u32 v6, v[vgprValuC+25], 16, 1               // Non-Nan case: store lsb of bf16
v_add3_u32 v6, v[vgprValuC+25], v6, v9             // Non-Nan case: add lsb and the increment for rounding
v_cndmask_b32 v[vgprValuC+25], v6, v8, s[52:53]    // 
v_and_or_b32 v24, v[vgprValuC+25], v7, v[vgprValuC+24] // pack two bf16 to dword
_buffer_store_b32 v24, v22, s[sgprSrdD:sgprSrdD+3], 0, offen, offset:0,  sc0 sc1 // store D
v_lshlrev_b32 v4, 16, v27                          // convert bf16 to fp32
_v_mac_f32 v[vgprValuC+28], v4, s[sgprBeta]        // finalSum = sum*alpha + C*beta
v_and_b32 v4, v27, v7                              // convert bf16 to fp32
_v_mac_f32 v[vgprValuC+29], v4, s[sgprBeta]        // finalSum = sum*alpha + C*beta
v_cmp_u_f32 s[52:53], v[vgprValuC+28], v[vgprValuC+28] // check Nan
v_bfe_u32 v6, v[vgprValuC+28], 16, 1               // Non-Nan case: store lsb of bf16
v_add3_u32 v6, v[vgprValuC+28], v6, v9             // Non-Nan case: add lsb and the increment for rounding
v_cndmask_b32 v[vgprValuC+28], v6, v8, s[52:53]    // 
v_lshrrev_b32 v[vgprValuC+28], 16, v[vgprValuC+28] // convert C to bf16
v_cmp_u_f32 s[52:53], v[vgprValuC+29], v[vgprValuC+29] // check Nan
v_bfe_u32 v6, v[vgprValuC+29], 16, 1               // Non-Nan case: store lsb of bf16
v_add3_u32 v6, v[vgprValuC+29], v6, v9             // Non-Nan case: add lsb and the increment for rounding
v_cndmask_b32 v[vgprValuC+29], v6, v8, s[52:53]    // 
v_and_or_b32 v28, v[vgprValuC+29], v7, v[vgprValuC+28] // pack two bf16 to dword
_buffer_store_b32 v28, v26, s[sgprSrdD:sgprSrdD+3], 0, offen, offset:0,  sc0 sc1 // store D
v_lshlrev_b32 v4, 16, v31                          // convert bf16 to fp32
_v_mac_f32 v[vgprValuC+32], v4, s[sgprBeta]        // finalSum = sum*alpha + C*beta
v_and_b32 v4, v31, v7                              // convert bf16 to fp32
_v_mac_f32 v[vgprValuC+33], v4, s[sgprBeta]        // finalSum = sum*alpha + C*beta
v_cmp_u_f32 s[52:53], v[vgprValuC+32], v[vgprValuC+32] // check Nan
v_bfe_u32 v6, v[vgprValuC+32], 16, 1               // Non-Nan case: store lsb of bf16
v_add3_u32 v6, v[vgprValuC+32], v6, v9             // Non-Nan case: add lsb and the increment for rounding
v_cndmask_b32 v[vgprValuC+32], v6, v8, s[52:53]    // 
v_lshrrev_b32 v[vgprValuC+32], 16, v[vgprValuC+32] // convert C to bf16
v_cmp_u_f32 s[52:53], v[vgprValuC+33], v[vgprValuC+33] // check Nan
v_bfe_u32 v6, v[vgprValuC+33], 16, 1               // Non-Nan case: store lsb of bf16
v_add3_u32 v6, v[vgprValuC+33], v6, v9             // Non-Nan case: add lsb and the increment for rounding
v_cndmask_b32 v[vgprValuC+33], v6, v8, s[52:53]    // 
v_and_or_b32 v32, v[vgprValuC+33], v7, v[vgprValuC+32] // pack two bf16 to dword
_buffer_store_b32 v32, v30, s[sgprSrdD:sgprSrdD+3], 0, offen, offset:0,  sc0 sc1 // store D
v_lshlrev_b32 v4, 16, v35                          // convert bf16 to fp32
_v_mac_f32 v[vgprValuC+36], v4, s[sgprBeta]        // finalSum = sum*alpha + C*beta
v_and_b32 v4, v35, v7                              // convert bf16 to fp32
_v_mac_f32 v[vgprValuC+37], v4, s[sgprBeta]        // finalSum = sum*alpha + C*beta
v_cmp_u_f32 s[52:53], v[vgprValuC+36], v[vgprValuC+36] // check Nan
v_bfe_u32 v6, v[vgprValuC+36], 16, 1               // Non-Nan case: store lsb of bf16
v_add3_u32 v6, v[vgprValuC+36], v6, v9             // Non-Nan case: add lsb and the increment for rounding
v_cndmask_b32 v[vgprValuC+36], v6, v8, s[52:53]    // 
v_lshrrev_b32 v[vgprValuC+36], 16, v[vgprValuC+36] // convert C to bf16
v_cmp_u_f32 s[52:53], v[vgprValuC+37], v[vgprValuC+37] // check Nan
v_bfe_u32 v6, v[vgprValuC+37], 16, 1               // Non-Nan case: store lsb of bf16
v_add3_u32 v6, v[vgprValuC+37], v6, v9             // Non-Nan case: add lsb and the increment for rounding
v_cndmask_b32 v[vgprValuC+37], v6, v8, s[52:53]    // 
v_and_or_b32 v36, v[vgprValuC+37], v7, v[vgprValuC+36] // pack two bf16 to dword
_buffer_store_b32 v36, v34, s[sgprSrdD:sgprSrdD+3], 0, offen, offset:0,  sc0 sc1 // store D
v_lshlrev_b32 v4, 16, v39                          // convert bf16 to fp32
_v_mac_f32 v[vgprValuC+40], v4, s[sgprBeta]        // finalSum = sum*alpha + C*beta
v_and_b32 v4, v39, v7                              // convert bf16 to fp32
_v_mac_f32 v[vgprValuC+41], v4, s[sgprBeta]        // finalSum = sum*alpha + C*beta
v_cmp_u_f32 s[52:53], v[vgprValuC+40], v[vgprValuC+40] // check Nan
v_bfe_u32 v6, v[vgprValuC+40], 16, 1               // Non-Nan case: store lsb of bf16
v_add3_u32 v6, v[vgprValuC+40], v6, v9             // Non-Nan case: add lsb and the increment for rounding
v_cndmask_b32 v[vgprValuC+40], v6, v8, s[52:53]    // 
v_lshrrev_b32 v[vgprValuC+40], 16, v[vgprValuC+40] // convert C to bf16
v_cmp_u_f32 s[52:53], v[vgprValuC+41], v[vgprValuC+41] // check Nan
v_bfe_u32 v6, v[vgprValuC+41], 16, 1               // Non-Nan case: store lsb of bf16
v_add3_u32 v6, v[vgprValuC+41], v6, v9             // Non-Nan case: add lsb and the increment for rounding
v_cndmask_b32 v[vgprValuC+41], v6, v8, s[52:53]    // 
v_and_or_b32 v40, v[vgprValuC+41], v7, v[vgprValuC+40] // pack two bf16 to dword
_buffer_store_b32 v40, v38, s[sgprSrdD:sgprSrdD+3], 0, offen, offset:0,  sc0 sc1 // store D
v_lshlrev_b32 v4, 16, v43                          // convert bf16 to fp32
_v_mac_f32 v[vgprValuC+44], v4, s[sgprBeta]        // finalSum = sum*alpha + C*beta
v_and_b32 v4, v43, v7                              // convert bf16 to fp32
_v_mac_f32 v[vgprValuC+45], v4, s[sgprBeta]        // finalSum = sum*alpha + C*beta
v_cmp_u_f32 s[52:53], v[vgprValuC+44], v[vgprValuC+44] // check Nan
v_bfe_u32 v6, v[vgprValuC+44], 16, 1               // Non-Nan case: store lsb of bf16
v_add3_u32 v6, v[vgprValuC+44], v6, v9             // Non-Nan case: add lsb and the increment for rounding
v_cndmask_b32 v[vgprValuC+44], v6, v8, s[52:53]    // 
v_lshrrev_b32 v[vgprValuC+44], 16, v[vgprValuC+44] // convert C to bf16
v_cmp_u_f32 s[52:53], v[vgprValuC+45], v[vgprValuC+45] // check Nan
v_bfe_u32 v6, v[vgprValuC+45], 16, 1               // Non-Nan case: store lsb of bf16
v_add3_u32 v6, v[vgprValuC+45], v6, v9             // Non-Nan case: add lsb and the increment for rounding
v_cndmask_b32 v[vgprValuC+45], v6, v8, s[52:53]    // 
v_and_or_b32 v44, v[vgprValuC+45], v7, v[vgprValuC+44] // pack two bf16 to dword
_buffer_store_b32 v44, v42, s[sgprSrdD:sgprSrdD+3], 0, offen, offset:0,  sc0 sc1 // store D
v_lshlrev_b32 v4, 16, v47                          // convert bf16 to fp32
_v_mac_f32 v[vgprValuC+48], v4, s[sgprBeta]        // finalSum = sum*alpha + C*beta
v_and_b32 v4, v47, v7                              // convert bf16 to fp32
_v_mac_f32 v[vgprValuC+49], v4, s[sgprBeta]        // finalSum = sum*alpha + C*beta
v_cmp_u_f32 s[52:53], v[vgprValuC+48], v[vgprValuC+48] // check Nan
v_bfe_u32 v6, v[vgprValuC+48], 16, 1               // Non-Nan case: store lsb of bf16
v_add3_u32 v6, v[vgprValuC+48], v6, v9             // Non-Nan case: add lsb and the increment for rounding
v_cndmask_b32 v[vgprValuC+48], v6, v8, s[52:53]    // 
v_lshrrev_b32 v[vgprValuC+48], 16, v[vgprValuC+48] // convert C to bf16
v_cmp_u_f32 s[52:53], v[vgprValuC+49], v[vgprValuC+49] // check Nan
v_bfe_u32 v6, v[vgprValuC+49], 16, 1               // Non-Nan case: store lsb of bf16
v_add3_u32 v6, v[vgprValuC+49], v6, v9             // Non-Nan case: add lsb and the increment for rounding
v_cndmask_b32 v[vgprValuC+49], v6, v8, s[52:53]    // 
v_and_or_b32 v48, v[vgprValuC+49], v7, v[vgprValuC+48] // pack two bf16 to dword
_buffer_store_b32 v48, v46, s[sgprSrdD:sgprSrdD+3], 0, offen, offset:0,  sc0 sc1 // store D
v_lshlrev_b32 v4, 16, v51                          // convert bf16 to fp32
_v_mac_f32 v[vgprValuC+52], v4, s[sgprBeta]        // finalSum = sum*alpha + C*beta
v_and_b32 v4, v51, v7                              // convert bf16 to fp32
_v_mac_f32 v[vgprValuC+53], v4, s[sgprBeta]        // finalSum = sum*alpha + C*beta
v_cmp_u_f32 s[52:53], v[vgprValuC+52], v[vgprValuC+52] // check Nan
v_bfe_u32 v6, v[vgprValuC+52], 16, 1               // Non-Nan case: store lsb of bf16
v_add3_u32 v6, v[vgprValuC+52], v6, v9             // Non-Nan case: add lsb and the increment for rounding
v_cndmask_b32 v[vgprValuC+52], v6, v8, s[52:53]    // 
v_lshrrev_b32 v[vgprValuC+52], 16, v[vgprValuC+52] // convert C to bf16
v_cmp_u_f32 s[52:53], v[vgprValuC+53], v[vgprValuC+53] // check Nan
v_bfe_u32 v6, v[vgprValuC+53], 16, 1               // Non-Nan case: store lsb of bf16
v_add3_u32 v6, v[vgprValuC+53], v6, v9             // Non-Nan case: add lsb and the increment for rounding
v_cndmask_b32 v[vgprValuC+53], v6, v8, s[52:53]    // 
v_and_or_b32 v52, v[vgprValuC+53], v7, v[vgprValuC+52] // pack two bf16 to dword
_buffer_store_b32 v52, v50, s[sgprSrdD:sgprSrdD+3], 0, offen, offset:0,  sc0 sc1 // store D
v_lshlrev_b32 v4, 16, v55                          // convert bf16 to fp32
_v_mac_f32 v[vgprValuC+56], v4, s[sgprBeta]        // finalSum = sum*alpha + C*beta
v_and_b32 v4, v55, v7                              // convert bf16 to fp32
_v_mac_f32 v[vgprValuC+57], v4, s[sgprBeta]        // finalSum = sum*alpha + C*beta
v_cmp_u_f32 s[52:53], v[vgprValuC+56], v[vgprValuC+56] // check Nan
v_bfe_u32 v6, v[vgprValuC+56], 16, 1               // Non-Nan case: store lsb of bf16
v_add3_u32 v6, v[vgprValuC+56], v6, v9             // Non-Nan case: add lsb and the increment for rounding
v_cndmask_b32 v[vgprValuC+56], v6, v8, s[52:53]    // 
v_lshrrev_b32 v[vgprValuC+56], 16, v[vgprValuC+56] // convert C to bf16
v_cmp_u_f32 s[52:53], v[vgprValuC+57], v[vgprValuC+57] // check Nan
v_bfe_u32 v6, v[vgprValuC+57], 16, 1               // Non-Nan case: store lsb of bf16
v_add3_u32 v6, v[vgprValuC+57], v6, v9             // Non-Nan case: add lsb and the increment for rounding
v_cndmask_b32 v[vgprValuC+57], v6, v8, s[52:53]    // 
v_and_or_b32 v56, v[vgprValuC+57], v7, v[vgprValuC+56] // pack two bf16 to dword
_buffer_store_b32 v56, v54, s[sgprSrdD:sgprSrdD+3], 0, offen, offset:0,  sc0 sc1 // store D
v_lshlrev_b32 v4, 16, v59                          // convert bf16 to fp32
_v_mac_f32 v[vgprValuC+60], v4, s[sgprBeta]        // finalSum = sum*alpha + C*beta
v_and_b32 v4, v59, v7                              // convert bf16 to fp32
_v_mac_f32 v[vgprValuC+61], v4, s[sgprBeta]        // finalSum = sum*alpha + C*beta
v_cmp_u_f32 s[52:53], v[vgprValuC+60], v[vgprValuC+60] // check Nan
v_bfe_u32 v6, v[vgprValuC+60], 16, 1               // Non-Nan case: store lsb of bf16
v_add3_u32 v6, v[vgprValuC+60], v6, v9             // Non-Nan case: add lsb and the increment for rounding
v_cndmask_b32 v[vgprValuC+60], v6, v8, s[52:53]    // 
v_lshrrev_b32 v[vgprValuC+60], 16, v[vgprValuC+60] // convert C to bf16
v_cmp_u_f32 s[52:53], v[vgprValuC+61], v[vgprValuC+61] // check Nan
v_bfe_u32 v6, v[vgprValuC+61], 16, 1               // Non-Nan case: store lsb of bf16
v_add3_u32 v6, v[vgprValuC+61], v6, v9             // Non-Nan case: add lsb and the increment for rounding
v_cndmask_b32 v[vgprValuC+61], v6, v8, s[52:53]    // 
v_and_or_b32 v60, v[vgprValuC+61], v7, v[vgprValuC+60] // pack two bf16 to dword
_buffer_store_b32 v60, v58, s[sgprSrdD:sgprSrdD+3], 0, offen, offset:0,  sc0 sc1 // store D
v_lshlrev_b32 v4, 16, v63                          // convert bf16 to fp32
_v_mac_f32 v[vgprValuC+64], v4, s[sgprBeta]        // finalSum = sum*alpha + C*beta
v_and_b32 v4, v63, v7                              // convert bf16 to fp32
_v_mac_f32 v[vgprValuC+65], v4, s[sgprBeta]        // finalSum = sum*alpha + C*beta
v_cmp_u_f32 s[52:53], v[vgprValuC+64], v[vgprValuC+64] // check Nan
v_bfe_u32 v6, v[vgprValuC+64], 16, 1               // Non-Nan case: store lsb of bf16
v_add3_u32 v6, v[vgprValuC+64], v6, v9             // Non-Nan case: add lsb and the increment for rounding
v_cndmask_b32 v[vgprValuC+64], v6, v8, s[52:53]    // 
v_lshrrev_b32 v[vgprValuC+64], 16, v[vgprValuC+64] // convert C to bf16
v_cmp_u_f32 s[52:53], v[vgprValuC+65], v[vgprValuC+65] // check Nan
v_bfe_u32 v6, v[vgprValuC+65], 16, 1               // Non-Nan case: store lsb of bf16
v_add3_u32 v6, v[vgprValuC+65], v6, v9             // Non-Nan case: add lsb and the increment for rounding
v_cndmask_b32 v[vgprValuC+65], v6, v8, s[52:53]    // 
v_and_or_b32 v64, v[vgprValuC+65], v7, v[vgprValuC+64] // pack two bf16 to dword
_buffer_store_b32 v64, v62, s[sgprSrdD:sgprSrdD+3], 0, offen, offset:0,  sc0 sc1 // store D
v_lshlrev_b32 v4, 16, v67                          // convert bf16 to fp32
_v_mac_f32 v[vgprValuC+68], v4, s[sgprBeta]        // finalSum = sum*alpha + C*beta
v_and_b32 v4, v67, v7                              // convert bf16 to fp32
_v_mac_f32 v[vgprValuC+69], v4, s[sgprBeta]        // finalSum = sum*alpha + C*beta
v_cmp_u_f32 s[52:53], v[vgprValuC+68], v[vgprValuC+68] // check Nan
v_bfe_u32 v6, v[vgprValuC+68], 16, 1               // Non-Nan case: store lsb of bf16
v_add3_u32 v6, v[vgprValuC+68], v6, v9             // Non-Nan case: add lsb and the increment for rounding
v_cndmask_b32 v[vgprValuC+68], v6, v8, s[52:53]    // 
v_lshrrev_b32 v[vgprValuC+68], 16, v[vgprValuC+68] // convert C to bf16
v_cmp_u_f32 s[52:53], v[vgprValuC+69], v[vgprValuC+69] // check Nan
v_bfe_u32 v6, v[vgprValuC+69], 16, 1               // Non-Nan case: store lsb of bf16
v_add3_u32 v6, v[vgprValuC+69], v6, v9             // Non-Nan case: add lsb and the increment for rounding
v_cndmask_b32 v[vgprValuC+69], v6, v8, s[52:53]    // 
v_and_or_b32 v68, v[vgprValuC+69], v7, v[vgprValuC+68] // pack two bf16 to dword
_buffer_store_b32 v68, v66, s[sgprSrdD:sgprSrdD+3], 0, offen, offset:0,  sc0 sc1 // store D
v_lshlrev_b32 v4, 16, v71                          // convert bf16 to fp32
_v_mac_f32 v[vgprValuC+72], v4, s[sgprBeta]        // finalSum = sum*alpha + C*beta
v_and_b32 v4, v71, v7                              // convert bf16 to fp32
_v_mac_f32 v[vgprValuC+73], v4, s[sgprBeta]        // finalSum = sum*alpha + C*beta
v_cmp_u_f32 s[52:53], v[vgprValuC+72], v[vgprValuC+72] // check Nan
v_bfe_u32 v6, v[vgprValuC+72], 16, 1               // Non-Nan case: store lsb of bf16
v_add3_u32 v6, v[vgprValuC+72], v6, v9             // Non-Nan case: add lsb and the increment for rounding
v_cndmask_b32 v[vgprValuC+72], v6, v8, s[52:53]    // 
v_lshrrev_b32 v[vgprValuC+72], 16, v[vgprValuC+72] // convert C to bf16
v_cmp_u_f32 s[52:53], v[vgprValuC+73], v[vgprValuC+73] // check Nan
v_bfe_u32 v6, v[vgprValuC+73], 16, 1               // Non-Nan case: store lsb of bf16
v_add3_u32 v6, v[vgprValuC+73], v6, v9             // Non-Nan case: add lsb and the increment for rounding
v_cndmask_b32 v[vgprValuC+73], v6, v8, s[52:53]    // 
v_and_or_b32 v72, v[vgprValuC+73], v7, v[vgprValuC+72] // pack two bf16 to dword
_buffer_store_b32 v72, v70, s[sgprSrdD:sgprSrdD+3], 0, offen, offset:0,  sc0 sc1 // store D
v_lshlrev_b32 v4, 16, v75                          // convert bf16 to fp32
_v_mac_f32 v[vgprValuC+76], v4, s[sgprBeta]        // finalSum = sum*alpha + C*beta
v_and_b32 v4, v75, v7                              // convert bf16 to fp32
_v_mac_f32 v[vgprValuC+77], v4, s[sgprBeta]        // finalSum = sum*alpha + C*beta
v_cmp_u_f32 s[52:53], v[vgprValuC+76], v[vgprValuC+76] // check Nan
v_bfe_u32 v6, v[vgprValuC+76], 16, 1               // Non-Nan case: store lsb of bf16
v_add3_u32 v6, v[vgprValuC+76], v6, v9             // Non-Nan case: add lsb and the increment for rounding
v_cndmask_b32 v[vgprValuC+76], v6, v8, s[52:53]    // 
v_lshrrev_b32 v[vgprValuC+76], 16, v[vgprValuC+76] // convert C to bf16
v_cmp_u_f32 s[52:53], v[vgprValuC+77], v[vgprValuC+77] // check Nan
v_bfe_u32 v6, v[vgprValuC+77], 16, 1               // Non-Nan case: store lsb of bf16
v_add3_u32 v6, v[vgprValuC+77], v6, v9             // Non-Nan case: add lsb and the increment for rounding
v_cndmask_b32 v[vgprValuC+77], v6, v8, s[52:53]    // 
v_and_or_b32 v76, v[vgprValuC+77], v7, v[vgprValuC+76] // pack two bf16 to dword
_buffer_store_b32 v76, v74, s[sgprSrdD:sgprSrdD+3], 0, offen, offset:0,  sc0 sc1 // store D
v_lshlrev_b32 v4, 16, v79                          // convert bf16 to fp32
_v_mac_f32 v[vgprValuC+80], v4, s[sgprBeta]        // finalSum = sum*alpha + C*beta
v_and_b32 v4, v79, v7                              // convert bf16 to fp32
_v_mac_f32 v[vgprValuC+81], v4, s[sgprBeta]        // finalSum = sum*alpha + C*beta
v_cmp_u_f32 s[52:53], v[vgprValuC+80], v[vgprValuC+80] // check Nan
v_bfe_u32 v6, v[vgprValuC+80], 16, 1               // Non-Nan case: store lsb of bf16
v_add3_u32 v6, v[vgprValuC+80], v6, v9             // Non-Nan case: add lsb and the increment for rounding
v_cndmask_b32 v[vgprValuC+80], v6, v8, s[52:53]    // 
v_lshrrev_b32 v[vgprValuC+80], 16, v[vgprValuC+80] // convert C to bf16
v_cmp_u_f32 s[52:53], v[vgprValuC+81], v[vgprValuC+81] // check Nan
v_bfe_u32 v6, v[vgprValuC+81], 16, 1               // Non-Nan case: store lsb of bf16
v_add3_u32 v6, v[vgprValuC+81], v6, v9             // Non-Nan case: add lsb and the increment for rounding
v_cndmask_b32 v[vgprValuC+81], v6, v8, s[52:53]    // 
v_and_or_b32 v80, v[vgprValuC+81], v7, v[vgprValuC+80] // pack two bf16 to dword
_buffer_store_b32 v80, v78, s[sgprSrdD:sgprSrdD+3], 0, offen, offset:0,  sc0 sc1 // store D
v_lshlrev_b32 v4, 16, v83                          // convert bf16 to fp32
_v_mac_f32 v[vgprValuC+84], v4, s[sgprBeta]        // finalSum = sum*alpha + C*beta
v_and_b32 v4, v83, v7                              // convert bf16 to fp32
_v_mac_f32 v[vgprValuC+85], v4, s[sgprBeta]        // finalSum = sum*alpha + C*beta
v_cmp_u_f32 s[52:53], v[vgprValuC+84], v[vgprValuC+84] // check Nan
v_bfe_u32 v6, v[vgprValuC+84], 16, 1               // Non-Nan case: store lsb of bf16
v_add3_u32 v6, v[vgprValuC+84], v6, v9             // Non-Nan case: add lsb and the increment for rounding
v_cndmask_b32 v[vgprValuC+84], v6, v8, s[52:53]    // 
v_lshrrev_b32 v[vgprValuC+84], 16, v[vgprValuC+84] // convert C to bf16
v_cmp_u_f32 s[52:53], v[vgprValuC+85], v[vgprValuC+85] // check Nan
v_bfe_u32 v6, v[vgprValuC+85], 16, 1               // Non-Nan case: store lsb of bf16
v_add3_u32 v6, v[vgprValuC+85], v6, v9             // Non-Nan case: add lsb and the increment for rounding
v_cndmask_b32 v[vgprValuC+85], v6, v8, s[52:53]    // 
v_and_or_b32 v84, v[vgprValuC+85], v7, v[vgprValuC+84] // pack two bf16 to dword
_buffer_store_b32 v84, v82, s[sgprSrdD:sgprSrdD+3], 0, offen, offset:0,  sc0 sc1 // store D
v_lshlrev_b32 v4, 16, v87                          // convert bf16 to fp32
_v_mac_f32 v[vgprValuC+88], v4, s[sgprBeta]        // finalSum = sum*alpha + C*beta
v_and_b32 v4, v87, v7                              // convert bf16 to fp32
_v_mac_f32 v[vgprValuC+89], v4, s[sgprBeta]        // finalSum = sum*alpha + C*beta
v_cmp_u_f32 s[52:53], v[vgprValuC+88], v[vgprValuC+88] // check Nan
v_bfe_u32 v6, v[vgprValuC+88], 16, 1               // Non-Nan case: store lsb of bf16
v_add3_u32 v6, v[vgprValuC+88], v6, v9             // Non-Nan case: add lsb and the increment for rounding
v_cndmask_b32 v[vgprValuC+88], v6, v8, s[52:53]    // 
v_lshrrev_b32 v[vgprValuC+88], 16, v[vgprValuC+88] // convert C to bf16
v_cmp_u_f32 s[52:53], v[vgprValuC+89], v[vgprValuC+89] // check Nan
v_bfe_u32 v6, v[vgprValuC+89], 16, 1               // Non-Nan case: store lsb of bf16
v_add3_u32 v6, v[vgprValuC+89], v6, v9             // Non-Nan case: add lsb and the increment for rounding
v_cndmask_b32 v[vgprValuC+89], v6, v8, s[52:53]    // 
v_and_or_b32 v88, v[vgprValuC+89], v7, v[vgprValuC+88] // pack two bf16 to dword
_buffer_store_b32 v88, v86, s[sgprSrdD:sgprSrdD+3], 0, offen, offset:0,  sc0 sc1 // store D
v_lshlrev_b32 v4, 16, v91                          // convert bf16 to fp32
_v_mac_f32 v[vgprValuC+92], v4, s[sgprBeta]        // finalSum = sum*alpha + C*beta
v_and_b32 v4, v91, v7                              // convert bf16 to fp32
_v_mac_f32 v[vgprValuC+93], v4, s[sgprBeta]        // finalSum = sum*alpha + C*beta
v_cmp_u_f32 s[52:53], v[vgprValuC+92], v[vgprValuC+92] // check Nan
v_bfe_u32 v6, v[vgprValuC+92], 16, 1               // Non-Nan case: store lsb of bf16
v_add3_u32 v6, v[vgprValuC+92], v6, v9             // Non-Nan case: add lsb and the increment for rounding
v_cndmask_b32 v[vgprValuC+92], v6, v8, s[52:53]    // 
v_lshrrev_b32 v[vgprValuC+92], 16, v[vgprValuC+92] // convert C to bf16
v_cmp_u_f32 s[52:53], v[vgprValuC+93], v[vgprValuC+93] // check Nan
v_bfe_u32 v6, v[vgprValuC+93], 16, 1               // Non-Nan case: store lsb of bf16
v_add3_u32 v6, v[vgprValuC+93], v6, v9             // Non-Nan case: add lsb and the increment for rounding
v_cndmask_b32 v[vgprValuC+93], v6, v8, s[52:53]    // 
v_and_or_b32 v92, v[vgprValuC+93], v7, v[vgprValuC+92] // pack two bf16 to dword
_buffer_store_b32 v92, v90, s[sgprSrdD:sgprSrdD+3], 0, offen, offset:0,  sc0 sc1 // store D
v_lshlrev_b32 v4, 16, v95                          // convert bf16 to fp32
_v_mac_f32 v[vgprValuC+96], v4, s[sgprBeta]        // finalSum = sum*alpha + C*beta
v_and_b32 v4, v95, v7                              // convert bf16 to fp32
_v_mac_f32 v[vgprValuC+97], v4, s[sgprBeta]        // finalSum = sum*alpha + C*beta
v_cmp_u_f32 s[52:53], v[vgprValuC+96], v[vgprValuC+96] // check Nan
v_bfe_u32 v6, v[vgprValuC+96], 16, 1               // Non-Nan case: store lsb of bf16
v_add3_u32 v6, v[vgprValuC+96], v6, v9             // Non-Nan case: add lsb and the increment for rounding
v_cndmask_b32 v[vgprValuC+96], v6, v8, s[52:53]    // 
v_lshrrev_b32 v[vgprValuC+96], 16, v[vgprValuC+96] // convert C to bf16
v_cmp_u_f32 s[52:53], v[vgprValuC+97], v[vgprValuC+97] // check Nan
v_bfe_u32 v6, v[vgprValuC+97], 16, 1               // Non-Nan case: store lsb of bf16
v_add3_u32 v6, v[vgprValuC+97], v6, v9             // Non-Nan case: add lsb and the increment for rounding
v_cndmask_b32 v[vgprValuC+97], v6, v8, s[52:53]    // 
v_and_or_b32 v96, v[vgprValuC+97], v7, v[vgprValuC+96] // pack two bf16 to dword
_buffer_store_b32 v96, v94, s[sgprSrdD:sgprSrdD+3], 0, offen, offset:0,  sc0 sc1 // store D
v_lshlrev_b32 v4, 16, v99                          // convert bf16 to fp32
_v_mac_f32 v[vgprValuC+100], v4, s[sgprBeta]       // finalSum = sum*alpha + C*beta
v_and_b32 v4, v99, v7                              // convert bf16 to fp32
_v_mac_f32 v[vgprValuC+101], v4, s[sgprBeta]       // finalSum = sum*alpha + C*beta
v_cmp_u_f32 s[52:53], v[vgprValuC+100], v[vgprValuC+100] // check Nan
v_bfe_u32 v6, v[vgprValuC+100], 16, 1              // Non-Nan case: store lsb of bf16
v_add3_u32 v6, v[vgprValuC+100], v6, v9            // Non-Nan case: add lsb and the increment for rounding
v_cndmask_b32 v[vgprValuC+100], v6, v8, s[52:53]   // 
v_lshrrev_b32 v[vgprValuC+100], 16, v[vgprValuC+100] // convert C to bf16
v_cmp_u_f32 s[52:53], v[vgprValuC+101], v[vgprValuC+101] // check Nan
v_bfe_u32 v6, v[vgprValuC+101], 16, 1              // Non-Nan case: store lsb of bf16
v_add3_u32 v6, v[vgprValuC+101], v6, v9            // Non-Nan case: add lsb and the increment for rounding
v_cndmask_b32 v[vgprValuC+101], v6, v8, s[52:53]   // 
v_and_or_b32 v100, v[vgprValuC+101], v7, v[vgprValuC+100] // pack two bf16 to dword
_buffer_store_b32 v100, v98, s[sgprSrdD:sgprSrdD+3], 0, offen, offset:0,  sc0 sc1 // store D
v_lshlrev_b32 v4, 16, v103                         // convert bf16 to fp32
_v_mac_f32 v[vgprValuC+104], v4, s[sgprBeta]       // finalSum = sum*alpha + C*beta
v_and_b32 v4, v103, v7                             // convert bf16 to fp32
_v_mac_f32 v[vgprValuC+105], v4, s[sgprBeta]       // finalSum = sum*alpha + C*beta
v_cmp_u_f32 s[52:53], v[vgprValuC+104], v[vgprValuC+104] // check Nan
v_bfe_u32 v6, v[vgprValuC+104], 16, 1              // Non-Nan case: store lsb of bf16
v_add3_u32 v6, v[vgprValuC+104], v6, v9            // Non-Nan case: add lsb and the increment for rounding
v_cndmask_b32 v[vgprValuC+104], v6, v8, s[52:53]   // 
v_lshrrev_b32 v[vgprValuC+104], 16, v[vgprValuC+104] // convert C to bf16
v_cmp_u_f32 s[52:53], v[vgprValuC+105], v[vgprValuC+105] // check Nan
v_bfe_u32 v6, v[vgprValuC+105], 16, 1              // Non-Nan case: store lsb of bf16
v_add3_u32 v6, v[vgprValuC+105], v6, v9            // Non-Nan case: add lsb and the increment for rounding
v_cndmask_b32 v[vgprValuC+105], v6, v8, s[52:53]   // 
v_and_or_b32 v104, v[vgprValuC+105], v7, v[vgprValuC+104] // pack two bf16 to dword
_buffer_store_b32 v104, v102, s[sgprSrdD:sgprSrdD+3], 0, offen, offset:0,  sc0 sc1 // store D
v_lshlrev_b32 v4, 16, v107                         // convert bf16 to fp32
_v_mac_f32 v[vgprValuC+108], v4, s[sgprBeta]       // finalSum = sum*alpha + C*beta
v_and_b32 v4, v107, v7                             // convert bf16 to fp32
	;; [unrolled: 15-line block ×37, first 2 shown]
_v_mac_f32 v[vgprValuC+253], v4, s[sgprBeta]       // finalSum = sum*alpha + C*beta
v_cmp_u_f32 s[52:53], v[vgprValuC+252], v[vgprValuC+252] // check Nan
v_bfe_u32 v6, v[vgprValuC+252], 16, 1              // Non-Nan case: store lsb of bf16
v_add3_u32 v6, v[vgprValuC+252], v6, v9            // Non-Nan case: add lsb and the increment for rounding
v_cndmask_b32 v[vgprValuC+252], v6, v8, s[52:53]   // 
v_lshrrev_b32 v[vgprValuC+252], 16, v[vgprValuC+252] // convert C to bf16
v_cmp_u_f32 s[52:53], v[vgprValuC+253], v[vgprValuC+253] // check Nan
v_bfe_u32 v6, v[vgprValuC+253], 16, 1              // Non-Nan case: store lsb of bf16
v_add3_u32 v6, v[vgprValuC+253], v6, v9            // Non-Nan case: add lsb and the increment for rounding
v_cndmask_b32 v[vgprValuC+253], v6, v8, s[52:53]   // 
v_and_or_b32 v252, v[vgprValuC+253], v7, v[vgprValuC+252] // pack two bf16 to dword
_buffer_store_b32 v252, v247, s[sgprSrdD:sgprSrdD+3], 0, offen, offset:0,  sc0 sc1 // store D
s_nop 0                                            // 1 wait state required when next inst writes vgprs held by previous dwordx4 store inst
/* optSingleColVgpr=0 optSharedColVgpr=0 optSGPRUsage=BufferLoad_Edge_Mask optSrdIncForRow=0 */

/******************************************/
/* Global Write Alpha Beta Edge Batch #2 (d1,d0,vc1,vc0) = */
/*    (7,0,2,0:vw2); (7,1,2,0:vw2); (7,2,2,0:vw2); (7,3,2,0:vw2); (7,0,3,0:vw2); (7,1,3,0:vw2); (7,2,3,0:vw2); (7,3,3,0:vw2) */
/******************************************/

/* calc coords, apply mask, and issue loads (if necessary) */
/* (d1,vc1,d0,vc0)=(7,2,0,0) */
_v_add_co_u32 v1, vcc, v1, 1                       // coord1.1: coord1Vgpr += d1*sg1*VW + vc1

/* Fix for UseInitialStridesCD, emitAddressSetupCode */
_v_add_u32 v2, v2, s[sgprStrideC1J]                // ROWINC- Move cinRowPtr to next row
_v_add_u32 v3, v3, s[sgprStrideD1J]                // Move coutRowPtr to next row
v_cmp_lt_u32 s[52:53], v0, s[sgprSizeI]            // coord0 < size0
v_cmp_lt_u32 s[56:57], v1, s[sgprSizeJ]            // coord1 < size1
s_and_b64 s[56:57], s[52:53], s[56:57]             // in0 && in1
_v_add_lshl_u32 v10, v2, v0, 0x1                   // scaleToBpe: accumulate d0 lower and *= bpe into Cin addr
v_cndmask_b32 v10, -1, v10, s[56:57]               // LDC clip if OOB. offset
_buffer_load_b32 v11, v10, s[sgprSrdC:sgprSrdC+3], 0, offen offset:0,  sc0 sc1 // load C for beta calc
_v_add_lshl_u32 v10, v3, v0, 0x1                   // scaleToBpe: accumulate d0 lower and *= bpe into Cin addr
v_cndmask_b32 v10, -1, v10, s[56:57]               // LDD clip if OOB. offset
/* (d1,vc1,d0,vc0)=(7,2,1,0) */
_v_add_co_u32 v4, vcc, v0, 64                      // coord0.1: coord0 += d0*sg0*VW + vc0
v_cmp_lt_u32 s[52:53], v4, s[sgprSizeI]            // coord0 < size0
v_cmp_lt_u32 s[56:57], v1, s[sgprSizeJ]            // coord1 < size1
s_and_b64 s[56:57], s[52:53], s[56:57]             // in0 && in1
_v_add_lshl_u32 v14, v2, v4, 0x1                   // scaleToBpe: accumulate d0 lower and *= bpe into Cin addr
v_cndmask_b32 v14, -1, v14, s[56:57]               // LDC clip if OOB. offset
_buffer_load_b32 v15, v14, s[sgprSrdC:sgprSrdC+3], 0, offen offset:0,  sc0 sc1 // load C for beta calc
_v_add_lshl_u32 v14, v3, v4, 0x1                   // scaleToBpe: accumulate d0 lower and *= bpe into Cin addr
v_cndmask_b32 v14, -1, v14, s[56:57]               // LDD clip if OOB. offset
/* (d1,vc1,d0,vc0)=(7,2,2,0) */
s_mov_b32 s52, 128                                 // coordOffset0 d0=2 vc0=0
_v_add_co_u32 v4, vcc, v0, s52                     // coord0.2: coord0 += d0*sg0*VW + vc0
v_cmp_lt_u32 s[52:53], v4, s[sgprSizeI]            // coord0 < size0
v_cmp_lt_u32 s[56:57], v1, s[sgprSizeJ]            // coord1 < size1
s_and_b64 s[56:57], s[52:53], s[56:57]             // in0 && in1
_v_add_lshl_u32 v18, v2, v4, 0x1                   // scaleToBpe: accumulate d0 lower and *= bpe into Cin addr
v_cndmask_b32 v18, -1, v18, s[56:57]               // LDC clip if OOB. offset
_buffer_load_b32 v19, v18, s[sgprSrdC:sgprSrdC+3], 0, offen offset:0,  sc0 sc1 // load C for beta calc
_v_add_lshl_u32 v18, v3, v4, 0x1                   // scaleToBpe: accumulate d0 lower and *= bpe into Cin addr
v_cndmask_b32 v18, -1, v18, s[56:57]               // LDD clip if OOB. offset
/* (d1,vc1,d0,vc0)=(7,2,3,0) */
s_mov_b32 s52, 192                                 // coordOffset0 d0=3 vc0=0
_v_add_co_u32 v4, vcc, v0, s52                     // coord0.2: coord0 += d0*sg0*VW + vc0
v_cmp_lt_u32 s[52:53], v4, s[sgprSizeI]            // coord0 < size0
v_cmp_lt_u32 s[56:57], v1, s[sgprSizeJ]            // coord1 < size1
s_and_b64 s[56:57], s[52:53], s[56:57]             // in0 && in1
_v_add_lshl_u32 v22, v2, v4, 0x1                   // scaleToBpe: accumulate d0 lower and *= bpe into Cin addr
v_cndmask_b32 v22, -1, v22, s[56:57]               // LDC clip if OOB. offset
_buffer_load_b32 v23, v22, s[sgprSrdC:sgprSrdC+3], 0, offen offset:0,  sc0 sc1 // load C for beta calc
_v_add_lshl_u32 v22, v3, v4, 0x1                   // scaleToBpe: accumulate d0 lower and *= bpe into Cin addr
v_cndmask_b32 v22, -1, v22, s[56:57]               // LDD clip if OOB. offset
/* (d1,vc1,d0,vc0)=(7,3,0,0) */
_v_add_co_u32 v1, vcc, v1, 1                       // coord1.1: coord1Vgpr += d1*sg1*VW + vc1

/* Fix for UseInitialStridesCD, emitAddressSetupCode */
_v_add_u32 v2, v2, s[sgprStrideC1J]                // ROWINC- Move cinRowPtr to next row
_v_add_u32 v3, v3, s[sgprStrideD1J]                // Move coutRowPtr to next row
v_cmp_lt_u32 s[52:53], v0, s[sgprSizeI]            // coord0 < size0
v_cmp_lt_u32 s[56:57], v1, s[sgprSizeJ]            // coord1 < size1
s_and_b64 s[56:57], s[52:53], s[56:57]             // in0 && in1
_v_add_lshl_u32 v26, v2, v0, 0x1                   // scaleToBpe: accumulate d0 lower and *= bpe into Cin addr
v_cndmask_b32 v26, -1, v26, s[56:57]               // LDC clip if OOB. offset
_buffer_load_b32 v27, v26, s[sgprSrdC:sgprSrdC+3], 0, offen offset:0,  sc0 sc1 // load C for beta calc
_v_add_lshl_u32 v26, v3, v0, 0x1                   // scaleToBpe: accumulate d0 lower and *= bpe into Cin addr
v_cndmask_b32 v26, -1, v26, s[56:57]               // LDD clip if OOB. offset
/* (d1,vc1,d0,vc0)=(7,3,1,0) */
_v_add_co_u32 v4, vcc, v0, 64                      // coord0.1: coord0 += d0*sg0*VW + vc0
v_cmp_lt_u32 s[52:53], v4, s[sgprSizeI]            // coord0 < size0
v_cmp_lt_u32 s[56:57], v1, s[sgprSizeJ]            // coord1 < size1
s_and_b64 s[56:57], s[52:53], s[56:57]             // in0 && in1
_v_add_lshl_u32 v30, v2, v4, 0x1                   // scaleToBpe: accumulate d0 lower and *= bpe into Cin addr
v_cndmask_b32 v30, -1, v30, s[56:57]               // LDC clip if OOB. offset
_buffer_load_b32 v31, v30, s[sgprSrdC:sgprSrdC+3], 0, offen offset:0,  sc0 sc1 // load C for beta calc
_v_add_lshl_u32 v30, v3, v4, 0x1                   // scaleToBpe: accumulate d0 lower and *= bpe into Cin addr
v_cndmask_b32 v30, -1, v30, s[56:57]               // LDD clip if OOB. offset
/* (d1,vc1,d0,vc0)=(7,3,2,0) */
s_mov_b32 s52, 128                                 // coordOffset0 d0=2 vc0=0
_v_add_co_u32 v4, vcc, v0, s52                     // coord0.2: coord0 += d0*sg0*VW + vc0
v_cmp_lt_u32 s[52:53], v4, s[sgprSizeI]            // coord0 < size0
v_cmp_lt_u32 s[56:57], v1, s[sgprSizeJ]            // coord1 < size1
s_and_b64 s[56:57], s[52:53], s[56:57]             // in0 && in1
_v_add_lshl_u32 v34, v2, v4, 0x1                   // scaleToBpe: accumulate d0 lower and *= bpe into Cin addr
v_cndmask_b32 v34, -1, v34, s[56:57]               // LDC clip if OOB. offset
_buffer_load_b32 v35, v34, s[sgprSrdC:sgprSrdC+3], 0, offen offset:0,  sc0 sc1 // load C for beta calc
_v_add_lshl_u32 v34, v3, v4, 0x1                   // scaleToBpe: accumulate d0 lower and *= bpe into Cin addr
v_cndmask_b32 v34, -1, v34, s[56:57]               // LDD clip if OOB. offset
/* (d1,vc1,d0,vc0)=(7,3,3,0) */
s_mov_b32 s52, 192                                 // coordOffset0 d0=3 vc0=0
_v_add_co_u32 v4, vcc, v0, s52                     // coord0.2: coord0 += d0*sg0*VW + vc0
v_cmp_lt_u32 s[52:53], v4, s[sgprSizeI]            // coord0 < size0
v_cmp_lt_u32 s[56:57], v1, s[sgprSizeJ]            // coord1 < size1
s_and_b64 s[56:57], s[52:53], s[56:57]             // in0 && in1
_v_add_lshl_u32 v38, v2, v4, 0x1                   // scaleToBpe: accumulate d0 lower and *= bpe into Cin addr
v_cndmask_b32 v38, -1, v38, s[56:57]               // LDC clip if OOB. offset
_buffer_load_b32 v39, v38, s[sgprSrdC:sgprSrdC+3], 0, offen offset:0,  sc0 sc1 // load C for beta calc
_v_add_lshl_u32 v38, v3, v4, 0x1                   // scaleToBpe: accumulate d0 lower and *= bpe into Cin addr
v_cndmask_b32 v38, -1, v38, s[56:57]               // LDD clip if OOB. offset
v_accvgpr_read_b32 v[vgprValuC+12], acc226 // copy acc to vreg[240]
v_accvgpr_read_b32 v[vgprValuC+13], acc230 // copy acc to vreg[241]
v_accvgpr_read_b32 v[vgprValuC+16], acc234 // copy acc to vreg[242]
v_accvgpr_read_b32 v[vgprValuC+17], acc238 // copy acc to vreg[243]
v_accvgpr_read_b32 v[vgprValuC+20], acc242 // copy acc to vreg[244]
v_accvgpr_read_b32 v[vgprValuC+21], acc246 // copy acc to vreg[245]
v_accvgpr_read_b32 v[vgprValuC+24], acc250 // copy acc to vreg[246]
v_accvgpr_read_b32 v[vgprValuC+25], acc254 // copy acc to vreg[247]
v_accvgpr_read_b32 v[vgprValuC+28], acc227 // copy acc to vreg[248]
v_accvgpr_read_b32 v[vgprValuC+29], acc231 // copy acc to vreg[249]
v_accvgpr_read_b32 v[vgprValuC+32], acc235 // copy acc to vreg[250]
v_accvgpr_read_b32 v[vgprValuC+33], acc239 // copy acc to vreg[251]
v_accvgpr_read_b32 v[vgprValuC+36], acc243 // copy acc to vreg[252]
v_accvgpr_read_b32 v[vgprValuC+37], acc247 // copy acc to vreg[253]
v_accvgpr_read_b32 v[vgprValuC+40], acc251 // copy acc to vreg[254]
v_accvgpr_read_b32 v[vgprValuC+41], acc255 // copy acc to vreg[255]
s_nop 1                                            // 2 wait states required before reading vgpr

/* rC *= alpha batchElements=[(7, 0, 2, 0), (7, 1, 2, 0), (7, 2, 2, 0), (7, 3, 2, 0), (7, 0, 3, 0), (7, 1, 3, 0), (7, 2, 3, 0), (7, 3, 3, 0)] */
v_mul_f32 v[vgprValuC+12], s[sgprAlpha], v[vgprValuC+12] // *= alpha
v_mul_f32 v[vgprValuC+13], s[sgprAlpha], v[vgprValuC+13] // *= alpha
	;; [unrolled: 1-line block ×16, first 2 shown]
s_waitcnt vmcnt(0)                                 // wait C

/* apply mask, calc new C and issue writes */
v_mov_b32 v7, 0xffff0000                           // mask for pack two bfloat16 element to 32bit
v_mov_b32 v8, 0x7fff0000                           // fp32 Nan
v_mov_b32 v9, 0x7fff                               // rounding bias for bfloat16
v_lshlrev_b32 v4, 16, v11                          // convert bf16 to fp32
_v_mac_f32 v[vgprValuC+12], v4, s[sgprBeta]        // finalSum = sum*alpha + C*beta
v_and_b32 v4, v11, v7                              // convert bf16 to fp32
_v_mac_f32 v[vgprValuC+13], v4, s[sgprBeta]        // finalSum = sum*alpha + C*beta
v_cmp_u_f32 s[52:53], v[vgprValuC+12], v[vgprValuC+12] // check Nan
v_bfe_u32 v6, v[vgprValuC+12], 16, 1               // Non-Nan case: store lsb of bf16
v_add3_u32 v6, v[vgprValuC+12], v6, v9             // Non-Nan case: add lsb and the increment for rounding
v_cndmask_b32 v[vgprValuC+12], v6, v8, s[52:53]    // 
v_lshrrev_b32 v[vgprValuC+12], 16, v[vgprValuC+12] // convert C to bf16
v_cmp_u_f32 s[52:53], v[vgprValuC+13], v[vgprValuC+13] // check Nan
v_bfe_u32 v6, v[vgprValuC+13], 16, 1               // Non-Nan case: store lsb of bf16
v_add3_u32 v6, v[vgprValuC+13], v6, v9             // Non-Nan case: add lsb and the increment for rounding
v_cndmask_b32 v[vgprValuC+13], v6, v8, s[52:53]    // 
v_and_or_b32 v12, v[vgprValuC+13], v7, v[vgprValuC+12] // pack two bf16 to dword
_buffer_store_b32 v12, v10, s[sgprSrdD:sgprSrdD+3], 0, offen, offset:0,  sc0 sc1 // store D
v_lshlrev_b32 v4, 16, v15                          // convert bf16 to fp32
_v_mac_f32 v[vgprValuC+16], v4, s[sgprBeta]        // finalSum = sum*alpha + C*beta
v_and_b32 v4, v15, v7                              // convert bf16 to fp32
_v_mac_f32 v[vgprValuC+17], v4, s[sgprBeta]        // finalSum = sum*alpha + C*beta
v_cmp_u_f32 s[52:53], v[vgprValuC+16], v[vgprValuC+16] // check Nan
v_bfe_u32 v6, v[vgprValuC+16], 16, 1               // Non-Nan case: store lsb of bf16
v_add3_u32 v6, v[vgprValuC+16], v6, v9             // Non-Nan case: add lsb and the increment for rounding
v_cndmask_b32 v[vgprValuC+16], v6, v8, s[52:53]    // 
v_lshrrev_b32 v[vgprValuC+16], 16, v[vgprValuC+16] // convert C to bf16
v_cmp_u_f32 s[52:53], v[vgprValuC+17], v[vgprValuC+17] // check Nan
v_bfe_u32 v6, v[vgprValuC+17], 16, 1               // Non-Nan case: store lsb of bf16
v_add3_u32 v6, v[vgprValuC+17], v6, v9             // Non-Nan case: add lsb and the increment for rounding
v_cndmask_b32 v[vgprValuC+17], v6, v8, s[52:53]    // 
v_and_or_b32 v16, v[vgprValuC+17], v7, v[vgprValuC+16] // pack two bf16 to dword
_buffer_store_b32 v16, v14, s[sgprSrdD:sgprSrdD+3], 0, offen, offset:0,  sc0 sc1 // store D
	;; [unrolled: 15-line block ×8, first 2 shown]
s_nop 0                                            // 1 wait state required when next inst writes vgprs held by previous dwordx4 store inst
s_branch label_GW_End_42                           // jump to end
label_GW_End_42:

label_0047:  /// KernelEnd
s_endpgm                                           // Kernel End

